;; amdgpu-corpus repo=ROCm/rocFFT kind=compiled arch=gfx1030 opt=O3
	.text
	.amdgcn_target "amdgcn-amd-amdhsa--gfx1030"
	.amdhsa_code_object_version 6
	.protected	fft_rtc_back_len289_factors_17_17_wgs_119_tpt_17_dp_op_CI_CI_sbcc_twdbase6_3step ; -- Begin function fft_rtc_back_len289_factors_17_17_wgs_119_tpt_17_dp_op_CI_CI_sbcc_twdbase6_3step
	.globl	fft_rtc_back_len289_factors_17_17_wgs_119_tpt_17_dp_op_CI_CI_sbcc_twdbase6_3step
	.p2align	8
	.type	fft_rtc_back_len289_factors_17_17_wgs_119_tpt_17_dp_op_CI_CI_sbcc_twdbase6_3step,@function
fft_rtc_back_len289_factors_17_17_wgs_119_tpt_17_dp_op_CI_CI_sbcc_twdbase6_3step: ; @fft_rtc_back_len289_factors_17_17_wgs_119_tpt_17_dp_op_CI_CI_sbcc_twdbase6_3step
; %bb.0:
	s_clause 0x3
	s_load_dwordx2 s[24:25], s[4:5], 0x0
	s_load_dwordx8 s[8:15], s[4:5], 0x8
	s_load_dwordx4 s[20:23], s[4:5], 0x60
	s_load_dwordx2 s[26:27], s[4:5], 0x28
	s_mov_b32 s1, exec_lo
	v_cmpx_gt_u32_e32 0xc0, v0
	s_cbranch_execz .LBB0_3
; %bb.1:
	v_lshlrev_b32_e32 v5, 4, v0
	v_add_co_u32 v1, s0, 0xffffff89, v0
	v_add_co_ci_u32_e64 v2, null, 0, -1, s0
	s_waitcnt lgkmcnt(0)
	v_add_co_u32 v3, s0, s8, v5
	v_add_co_ci_u32_e64 v4, null, s9, 0, s0
	v_add3_u32 v5, v5, 0, 0x7e70
	s_mov_b32 s2, 0
	.p2align	6
.LBB0_2:                                ; =>This Inner Loop Header: Depth=1
	global_load_dwordx4 v[6:9], v[3:4], off
	v_add_co_u32 v1, vcc_lo, 0x77, v1
	v_add_co_ci_u32_e32 v2, vcc_lo, 0, v2, vcc_lo
	v_add_co_u32 v3, vcc_lo, 0x770, v3
	v_add_co_ci_u32_e32 v4, vcc_lo, 0, v4, vcc_lo
	v_cmp_lt_u64_e64 s0, 0x48, v[1:2]
	s_or_b32 s2, s0, s2
	s_waitcnt vmcnt(0)
	ds_write2_b64 v5, v[6:7], v[8:9] offset1:1
	v_add_nc_u32_e32 v5, 0x770, v5
	s_andn2_b32 exec_lo, exec_lo, s2
	s_cbranch_execnz .LBB0_2
.LBB0_3:
	s_or_b32 exec_lo, exec_lo, s1
	s_waitcnt lgkmcnt(0)
	s_load_dwordx2 s[28:29], s[12:13], 0x8
	s_waitcnt lgkmcnt(0)
	s_add_u32 s0, s28, -1
	s_addc_u32 s1, s29, -1
	s_add_u32 s2, 0, 0x92481000
	s_addc_u32 s3, 0, 0x64
	s_mul_hi_u32 s5, s2, -7
	s_add_i32 s3, s3, 0x249248c0
	s_sub_i32 s5, s5, s2
	s_mul_i32 s8, s3, -7
	s_mul_i32 s4, s2, -7
	s_add_i32 s5, s5, s8
	s_mul_hi_u32 s7, s2, s4
	s_mul_i32 s16, s2, s5
	s_mul_hi_u32 s8, s2, s5
	s_mul_hi_u32 s9, s3, s4
	s_mul_i32 s4, s3, s4
	s_add_u32 s7, s7, s16
	s_addc_u32 s8, 0, s8
	s_mul_hi_u32 s17, s3, s5
	s_add_u32 s4, s7, s4
	s_mul_i32 s5, s3, s5
	s_addc_u32 s4, s8, s9
	s_addc_u32 s7, s17, 0
	s_add_u32 s4, s4, s5
	v_add_co_u32 v1, s2, s2, s4
	s_addc_u32 s4, 0, s7
	s_cmp_lg_u32 s2, 0
	s_addc_u32 s2, s3, s4
	v_readfirstlane_b32 s3, v1
	s_mul_i32 s5, s0, s2
	s_mul_hi_u32 s4, s0, s2
	s_mul_hi_u32 s7, s1, s2
	s_mul_i32 s2, s1, s2
	s_mul_hi_u32 s8, s0, s3
	s_mul_hi_u32 s9, s1, s3
	s_mul_i32 s3, s1, s3
	s_add_u32 s5, s8, s5
	s_addc_u32 s4, 0, s4
	s_add_u32 s3, s5, s3
	s_addc_u32 s3, s4, s9
	s_addc_u32 s4, s7, 0
	s_add_u32 s2, s3, s2
	s_addc_u32 s3, 0, s4
	s_mul_i32 s5, s2, 7
	s_add_u32 s4, s2, 1
	v_sub_co_u32 v1, s0, s0, s5
	s_mul_hi_u32 s5, s2, 7
	s_addc_u32 s7, s3, 0
	s_mul_i32 s8, s3, 7
	v_sub_co_u32 v2, s9, v1, 7
	s_add_u32 s16, s2, 2
	s_addc_u32 s17, s3, 0
	s_add_i32 s5, s5, s8
	s_cmp_lg_u32 s0, 0
	v_readfirstlane_b32 s0, v2
	s_subb_u32 s1, s1, s5
	s_cmp_lg_u32 s9, 0
	s_mov_b64 s[8:9], 0
	s_subb_u32 s5, s1, 0
	s_cmp_gt_u32 s0, 6
	s_cselect_b32 s0, -1, 0
	s_cmp_eq_u32 s5, 0
	v_readfirstlane_b32 s5, v1
	s_cselect_b32 s0, s0, -1
	s_cmp_lg_u32 s0, 0
	s_cselect_b32 s0, s16, s4
	s_cselect_b32 s4, s17, s7
	s_cmp_gt_u32 s5, 6
	s_mov_b32 s7, 0
	s_cselect_b32 s5, -1, 0
	s_cmp_eq_u32 s1, 0
	s_cselect_b32 s1, s5, -1
	s_cmp_lg_u32 s1, 0
	s_cselect_b32 s0, s0, s2
	s_cselect_b32 s1, s4, s3
	s_add_u32 s34, s0, 1
	s_addc_u32 s35, s1, 0
	v_cmp_lt_u64_e64 s0, s[6:7], s[34:35]
	s_and_b32 vcc_lo, exec_lo, s0
	s_cbranch_vccnz .LBB0_5
; %bb.4:
	v_cvt_f32_u32_e32 v1, s34
	s_sub_i32 s1, 0, s34
	s_mov_b32 s9, s7
	v_rcp_iflag_f32_e32 v1, v1
	v_mul_f32_e32 v1, 0x4f7ffffe, v1
	v_cvt_u32_f32_e32 v1, v1
	v_readfirstlane_b32 s0, v1
	s_mul_i32 s1, s1, s0
	s_mul_hi_u32 s1, s0, s1
	s_add_i32 s0, s0, s1
	s_mul_hi_u32 s0, s6, s0
	s_mul_i32 s1, s0, s34
	s_add_i32 s2, s0, 1
	s_sub_i32 s1, s6, s1
	s_sub_i32 s3, s1, s34
	s_cmp_ge_u32 s1, s34
	s_cselect_b32 s0, s2, s0
	s_cselect_b32 s1, s3, s1
	s_add_i32 s2, s0, 1
	s_cmp_ge_u32 s1, s34
	s_cselect_b32 s8, s2, s0
.LBB0_5:
	s_load_dwordx4 s[0:3], s[14:15], 0x0
	s_load_dwordx4 s[16:19], s[26:27], 0x0
	s_mul_i32 s4, s8, s35
	s_mul_hi_u32 s5, s8, s34
	s_mul_i32 s30, s8, s34
	s_add_i32 s5, s5, s4
	s_sub_u32 s48, s6, s30
	s_subb_u32 s4, 0, s5
	v_cmp_lt_u64_e64 s31, s[10:11], 3
	s_mul_hi_u32 s33, s48, 7
	s_mul_i32 s4, s4, 7
	s_mul_i32 s48, s48, 7
	s_add_i32 s33, s33, s4
	s_and_b32 vcc_lo, exec_lo, s31
	s_waitcnt lgkmcnt(0)
	s_mul_i32 s4, s2, s33
	s_mul_hi_u32 s5, s2, s48
	s_mul_i32 s36, s18, s33
	s_mul_hi_u32 s37, s18, s48
	s_mul_i32 s31, s3, s48
	s_mul_i32 s38, s19, s48
	s_add_i32 s4, s5, s4
	s_add_i32 s5, s37, s36
	s_mul_i32 s30, s2, s48
	s_add_i32 s31, s4, s31
	s_add_i32 s5, s5, s38
	s_mul_i32 s4, s18, s48
	s_cbranch_vccnz .LBB0_15
; %bb.6:
	s_add_u32 s36, s26, 16
	s_addc_u32 s37, s27, 0
	s_add_u32 s38, s14, 16
	s_addc_u32 s39, s15, 0
	;; [unrolled: 2-line block ×3, first 2 shown]
	s_mov_b64 s[40:41], 2
	s_mov_b32 s42, 0
.LBB0_7:                                ; =>This Inner Loop Header: Depth=1
	s_load_dwordx2 s[44:45], s[12:13], 0x0
	s_waitcnt lgkmcnt(0)
	s_or_b64 s[46:47], s[8:9], s[44:45]
	s_mov_b32 s43, s47
                                        ; implicit-def: $sgpr46_sgpr47
	s_cmp_lg_u64 s[42:43], 0
	s_mov_b32 s43, -1
	s_cbranch_scc0 .LBB0_9
; %bb.8:                                ;   in Loop: Header=BB0_7 Depth=1
	v_cvt_f32_u32_e32 v1, s44
	v_cvt_f32_u32_e32 v2, s45
	s_sub_u32 s47, 0, s44
	s_subb_u32 s49, 0, s45
	v_fmac_f32_e32 v1, 0x4f800000, v2
	v_rcp_f32_e32 v1, v1
	v_mul_f32_e32 v1, 0x5f7ffffc, v1
	v_mul_f32_e32 v2, 0x2f800000, v1
	v_trunc_f32_e32 v2, v2
	v_fmac_f32_e32 v1, 0xcf800000, v2
	v_cvt_u32_f32_e32 v2, v2
	v_cvt_u32_f32_e32 v1, v1
	v_readfirstlane_b32 s43, v2
	v_readfirstlane_b32 s46, v1
	s_mul_i32 s50, s47, s43
	s_mul_hi_u32 s52, s47, s46
	s_mul_i32 s51, s49, s46
	s_add_i32 s50, s52, s50
	s_mul_i32 s53, s47, s46
	s_add_i32 s50, s50, s51
	s_mul_hi_u32 s52, s46, s53
	s_mul_hi_u32 s54, s43, s53
	s_mul_i32 s51, s43, s53
	s_mul_hi_u32 s53, s46, s50
	s_mul_i32 s46, s46, s50
	s_mul_hi_u32 s55, s43, s50
	s_add_u32 s46, s52, s46
	s_addc_u32 s52, 0, s53
	s_add_u32 s46, s46, s51
	s_mul_i32 s50, s43, s50
	s_addc_u32 s46, s52, s54
	s_addc_u32 s51, s55, 0
	s_add_u32 s46, s46, s50
	s_addc_u32 s50, 0, s51
	v_add_co_u32 v1, s46, v1, s46
	s_cmp_lg_u32 s46, 0
	s_addc_u32 s43, s43, s50
	v_readfirstlane_b32 s46, v1
	s_mul_i32 s50, s47, s43
	s_mul_hi_u32 s51, s47, s46
	s_mul_i32 s49, s49, s46
	s_add_i32 s50, s51, s50
	s_mul_i32 s47, s47, s46
	s_add_i32 s50, s50, s49
	s_mul_hi_u32 s51, s43, s47
	s_mul_i32 s52, s43, s47
	s_mul_hi_u32 s47, s46, s47
	s_mul_hi_u32 s53, s46, s50
	s_mul_i32 s46, s46, s50
	s_mul_hi_u32 s49, s43, s50
	s_add_u32 s46, s47, s46
	s_addc_u32 s47, 0, s53
	s_add_u32 s46, s46, s52
	s_mul_i32 s50, s43, s50
	s_addc_u32 s46, s47, s51
	s_addc_u32 s47, s49, 0
	s_add_u32 s46, s46, s50
	s_addc_u32 s47, 0, s47
	v_add_co_u32 v1, s46, v1, s46
	s_cmp_lg_u32 s46, 0
	s_addc_u32 s43, s43, s47
	v_readfirstlane_b32 s46, v1
	s_mul_i32 s49, s8, s43
	s_mul_hi_u32 s47, s8, s43
	s_mul_hi_u32 s50, s9, s43
	s_mul_i32 s43, s9, s43
	s_mul_hi_u32 s51, s8, s46
	s_mul_hi_u32 s52, s9, s46
	s_mul_i32 s46, s9, s46
	s_add_u32 s49, s51, s49
	s_addc_u32 s47, 0, s47
	s_add_u32 s46, s49, s46
	s_addc_u32 s46, s47, s52
	s_addc_u32 s47, s50, 0
	s_add_u32 s46, s46, s43
	s_addc_u32 s47, 0, s47
	s_mul_hi_u32 s43, s44, s46
	s_mul_i32 s50, s44, s47
	s_mul_i32 s51, s44, s46
	s_add_i32 s43, s43, s50
	v_sub_co_u32 v1, s50, s8, s51
	s_mul_i32 s49, s45, s46
	s_add_i32 s43, s43, s49
	v_sub_co_u32 v2, s51, v1, s44
	s_sub_i32 s49, s9, s43
	s_cmp_lg_u32 s50, 0
	s_subb_u32 s49, s49, s45
	s_cmp_lg_u32 s51, 0
	v_readfirstlane_b32 s51, v2
	s_subb_u32 s49, s49, 0
	s_cmp_ge_u32 s49, s45
	s_cselect_b32 s52, -1, 0
	s_cmp_ge_u32 s51, s44
	s_cselect_b32 s51, -1, 0
	s_cmp_eq_u32 s49, s45
	s_cselect_b32 s49, s51, s52
	s_add_u32 s51, s46, 1
	s_addc_u32 s52, s47, 0
	s_add_u32 s53, s46, 2
	s_addc_u32 s54, s47, 0
	s_cmp_lg_u32 s49, 0
	s_cselect_b32 s49, s53, s51
	s_cselect_b32 s51, s54, s52
	s_cmp_lg_u32 s50, 0
	v_readfirstlane_b32 s50, v1
	s_subb_u32 s43, s9, s43
	s_cmp_ge_u32 s43, s45
	s_cselect_b32 s52, -1, 0
	s_cmp_ge_u32 s50, s44
	s_cselect_b32 s50, -1, 0
	s_cmp_eq_u32 s43, s45
	s_cselect_b32 s43, s50, s52
	s_cmp_lg_u32 s43, 0
	s_mov_b32 s43, 0
	s_cselect_b32 s47, s51, s47
	s_cselect_b32 s46, s49, s46
.LBB0_9:                                ;   in Loop: Header=BB0_7 Depth=1
	s_andn2_b32 vcc_lo, exec_lo, s43
	s_cbranch_vccnz .LBB0_11
; %bb.10:                               ;   in Loop: Header=BB0_7 Depth=1
	v_cvt_f32_u32_e32 v1, s44
	s_sub_i32 s46, 0, s44
	v_rcp_iflag_f32_e32 v1, v1
	v_mul_f32_e32 v1, 0x4f7ffffe, v1
	v_cvt_u32_f32_e32 v1, v1
	v_readfirstlane_b32 s43, v1
	s_mul_i32 s46, s46, s43
	s_mul_hi_u32 s46, s43, s46
	s_add_i32 s43, s43, s46
	s_mul_hi_u32 s43, s8, s43
	s_mul_i32 s46, s43, s44
	s_add_i32 s47, s43, 1
	s_sub_i32 s46, s8, s46
	s_sub_i32 s49, s46, s44
	s_cmp_ge_u32 s46, s44
	s_cselect_b32 s43, s47, s43
	s_cselect_b32 s46, s49, s46
	s_add_i32 s47, s43, 1
	s_cmp_ge_u32 s46, s44
	s_cselect_b32 s46, s47, s43
	s_mov_b32 s47, s42
.LBB0_11:                               ;   in Loop: Header=BB0_7 Depth=1
	s_load_dwordx2 s[50:51], s[38:39], 0x0
	s_load_dwordx2 s[52:53], s[36:37], 0x0
	s_mul_i32 s35, s44, s35
	s_mul_hi_u32 s43, s44, s34
	s_mul_i32 s49, s45, s34
	s_mul_i32 s45, s46, s45
	s_mul_hi_u32 s54, s46, s44
	s_mul_i32 s55, s47, s44
	s_add_i32 s35, s43, s35
	s_add_i32 s43, s54, s45
	s_mul_i32 s56, s46, s44
	s_add_i32 s35, s35, s49
	s_add_i32 s43, s43, s55
	s_sub_u32 s8, s8, s56
	s_subb_u32 s9, s9, s43
	s_mul_i32 s34, s44, s34
	s_waitcnt lgkmcnt(0)
	s_mul_i32 s43, s50, s9
	s_mul_hi_u32 s45, s50, s8
	s_mul_i32 s49, s51, s8
	s_add_i32 s43, s45, s43
	s_mul_i32 s50, s50, s8
	s_mul_i32 s9, s52, s9
	s_mul_hi_u32 s45, s52, s8
	s_add_i32 s43, s43, s49
	s_add_u32 s30, s50, s30
	s_addc_u32 s31, s43, s31
	s_add_i32 s9, s45, s9
	s_mul_i32 s43, s53, s8
	s_mul_i32 s8, s52, s8
	s_add_i32 s9, s9, s43
	s_add_u32 s4, s8, s4
	s_addc_u32 s5, s9, s5
	s_add_u32 s40, s40, 1
	s_addc_u32 s41, s41, 0
	s_add_u32 s36, s36, 8
	v_cmp_ge_u64_e64 s8, s[40:41], s[10:11]
	s_addc_u32 s37, s37, 0
	s_add_u32 s38, s38, 8
	s_addc_u32 s39, s39, 0
	s_add_u32 s12, s12, 8
	s_addc_u32 s13, s13, 0
	s_and_b32 vcc_lo, exec_lo, s8
	s_cbranch_vccnz .LBB0_13
; %bb.12:                               ;   in Loop: Header=BB0_7 Depth=1
	s_mov_b64 s[8:9], s[46:47]
	s_branch .LBB0_7
.LBB0_13:
	v_cmp_lt_u64_e64 s7, s[6:7], s[34:35]
	s_mov_b64 s[8:9], 0
	s_and_b32 vcc_lo, exec_lo, s7
	s_cbranch_vccnz .LBB0_15
; %bb.14:
	v_cvt_f32_u32_e32 v1, s34
	s_sub_i32 s8, 0, s34
	v_rcp_iflag_f32_e32 v1, v1
	v_mul_f32_e32 v1, 0x4f7ffffe, v1
	v_cvt_u32_f32_e32 v1, v1
	v_readfirstlane_b32 s7, v1
	s_mul_i32 s8, s8, s7
	s_mul_hi_u32 s8, s7, s8
	s_add_i32 s7, s7, s8
	s_mul_hi_u32 s7, s6, s7
	s_mul_i32 s8, s7, s34
	s_sub_i32 s6, s6, s8
	s_add_i32 s8, s7, 1
	s_sub_i32 s9, s6, s34
	s_cmp_ge_u32 s6, s34
	s_cselect_b32 s7, s8, s7
	s_cselect_b32 s6, s9, s6
	s_add_i32 s8, s7, 1
	s_cmp_ge_u32 s6, s34
	s_cselect_b32 s8, s8, s7
.LBB0_15:
	v_mul_hi_u32 v101, 0x24924925, v0
	s_lshl_b64 s[10:11], s[10:11], 3
	v_mov_b32_e32 v53, 0
	s_add_u32 s6, s26, s10
	s_addc_u32 s7, s27, s11
	s_add_u32 s12, s48, 7
	s_addc_u32 s13, s33, 0
	v_cmp_le_u64_e64 s9, s[12:13], s[28:29]
	v_mul_u32_u24_e32 v1, 7, v101
	v_lshlrev_b32_e32 v103, 4, v101
	v_add_nc_u32_e32 v102, 17, v101
	v_add_nc_u32_e32 v99, 34, v101
	;; [unrolled: 1-line block ×3, first 2 shown]
	v_sub_nc_u32_e32 v104, v0, v1
	v_add_nc_u32_e32 v98, 0x44, v101
	v_add_nc_u32_e32 v97, 0x55, v101
	;; [unrolled: 1-line block ×4, first 2 shown]
	v_add_co_u32 v1, s12, s48, v104
	v_add_co_ci_u32_e64 v2, null, s33, 0, s12
	v_mul_lo_u32 v105, 0x1210, v104
	v_add_nc_u32_e32 v94, 0x88, v101
	v_add_nc_u32_e32 v93, 0x99, v101
	v_cmp_gt_u64_e32 vcc_lo, s[28:29], v[1:2]
	v_add_nc_u32_e32 v92, 0xaa, v101
	v_add_nc_u32_e32 v91, 0xbb, v101
	;; [unrolled: 1-line block ×7, first 2 shown]
	s_or_b32 s9, s9, vcc_lo
	s_and_saveexec_b32 s12, s9
	s_cbranch_execz .LBB0_17
; %bb.16:
	s_add_u32 s10, s14, s10
	s_addc_u32 s11, s15, s11
	v_mad_u64_u32 v[1:2], null, s2, v104, 0
	s_load_dwordx2 s[10:11], s[10:11], 0x0
	v_mad_u64_u32 v[3:4], null, s0, v101, 0
	v_mad_u64_u32 v[11:12], null, s0, v100, 0
	;; [unrolled: 1-line block ×9, first 2 shown]
	v_mov_b32_e32 v2, v5
	s_waitcnt lgkmcnt(0)
	s_mul_i32 s3, s11, s8
	s_mul_hi_u32 s11, s10, s8
	s_mul_i32 s2, s10, s8
	s_add_i32 s3, s11, s3
	v_lshlrev_b64 v[1:2], 4, v[1:2]
	s_lshl_b64 s[2:3], s[2:3], 4
	v_mov_b32_e32 v4, v8
	s_add_u32 s10, s20, s2
	s_addc_u32 s11, s21, s3
	s_lshl_b64 s[2:3], s[30:31], 4
	v_mad_u64_u32 v[9:10], null, s0, v99, 0
	s_add_u32 s2, s10, s2
	v_lshlrev_b64 v[3:4], 4, v[3:4]
	v_add_co_u32 v66, vcc_lo, s2, v1
	s_addc_u32 s3, s11, s3
	v_mad_u64_u32 v[21:22], null, s0, v94, 0
	v_add_co_ci_u32_e32 v67, vcc_lo, s3, v2, vcc_lo
	v_add_co_u32 v1, vcc_lo, v66, v3
	v_mov_b32_e32 v3, v7
	v_add_co_ci_u32_e32 v2, vcc_lo, v67, v4, vcc_lo
	v_mov_b32_e32 v5, v10
	v_mov_b32_e32 v10, v14
	v_mad_u64_u32 v[3:4], null, s1, v102, v[3:4]
	v_mov_b32_e32 v14, v16
	v_mov_b32_e32 v16, v18
	;; [unrolled: 1-line block ×3, first 2 shown]
	v_mad_u64_u32 v[23:24], null, s0, v93, 0
	v_mov_b32_e32 v20, v22
	v_mov_b32_e32 v7, v3
	v_mad_u64_u32 v[25:26], null, s0, v92, 0
	v_mad_u64_u32 v[27:28], null, s0, v91, 0
	v_lshlrev_b64 v[3:4], 4, v[6:7]
	v_mov_b32_e32 v6, v12
	v_mad_u64_u32 v[29:30], null, s0, v90, 0
	v_mov_b32_e32 v22, v24
	v_mov_b32_e32 v24, v26
	v_add_co_u32 v7, vcc_lo, v66, v3
	v_mad_u64_u32 v[31:32], null, s1, v99, v[5:6]
	v_mad_u64_u32 v[37:38], null, s0, v88, 0
	;; [unrolled: 1-line block ×4, first 2 shown]
	v_mov_b32_e32 v10, v31
	v_mov_b32_e32 v26, v28
	;; [unrolled: 1-line block ×3, first 2 shown]
	v_mad_u64_u32 v[39:40], null, s0, v87, 0
	v_mov_b32_e32 v12, v32
	v_mad_u64_u32 v[31:32], null, s1, v97, v[14:15]
	v_mov_b32_e32 v14, v33
	v_mad_u64_u32 v[32:33], null, s1, v95, v[16:17]
	v_mad_u64_u32 v[33:34], null, s1, v96, v[18:19]
	;; [unrolled: 1-line block ×4, first 2 shown]
	v_mov_b32_e32 v16, v31
	v_mov_b32_e32 v18, v32
	v_mad_u64_u32 v[31:32], null, s1, v93, v[22:23]
	v_mov_b32_e32 v20, v33
	v_mad_u64_u32 v[32:33], null, s1, v92, v[24:25]
	v_mov_b32_e32 v24, v36
	v_mov_b32_e32 v22, v34
	v_mad_u64_u32 v[33:34], null, s1, v91, v[26:27]
	v_mov_b32_e32 v26, v38
	v_mad_u64_u32 v[43:44], null, s1, v90, v[28:29]
	v_mad_u64_u32 v[44:45], null, s1, v89, v[24:25]
	;; [unrolled: 1-line block ×4, first 2 shown]
	v_lshlrev_b64 v[9:10], 4, v[9:10]
	v_lshlrev_b64 v[11:12], 4, v[11:12]
	v_mov_b32_e32 v24, v40
	v_mov_b32_e32 v36, v44
	v_add_co_ci_u32_e32 v8, vcc_lo, v67, v4, vcc_lo
	v_lshlrev_b64 v[13:14], 4, v[13:14]
	v_add_co_u32 v9, vcc_lo, v66, v9
	v_mov_b32_e32 v28, v42
	v_mov_b32_e32 v38, v45
	v_add_co_ci_u32_e32 v10, vcc_lo, v67, v10, vcc_lo
	v_mad_u64_u32 v[46:47], null, s1, v87, v[24:25]
	v_mov_b32_e32 v24, v31
	v_mov_b32_e32 v26, v32
	v_lshlrev_b64 v[15:16], 4, v[15:16]
	v_lshlrev_b64 v[31:32], 4, v[35:36]
	v_add_co_u32 v35, vcc_lo, v66, v11
	v_add_co_ci_u32_e32 v36, vcc_lo, v67, v12, vcc_lo
	v_mad_u64_u32 v[47:48], null, s1, v86, v[28:29]
	v_mov_b32_e32 v28, v33
	v_lshlrev_b64 v[17:18], 4, v[17:18]
	v_lshlrev_b64 v[33:34], 4, v[37:38]
	v_add_co_u32 v37, vcc_lo, v66, v13
	v_add_co_ci_u32_e32 v38, vcc_lo, v67, v14, vcc_lo
	v_mov_b32_e32 v30, v43
	v_lshlrev_b64 v[19:20], 4, v[19:20]
	v_add_co_u32 v43, vcc_lo, v66, v15
	v_add_co_ci_u32_e32 v44, vcc_lo, v67, v16, vcc_lo
	v_lshlrev_b64 v[21:22], 4, v[21:22]
	v_add_co_u32 v45, vcc_lo, v66, v17
	v_mov_b32_e32 v40, v46
	v_add_co_ci_u32_e32 v46, vcc_lo, v67, v18, vcc_lo
	v_mov_b32_e32 v42, v47
	v_lshlrev_b64 v[23:24], 4, v[23:24]
	v_add_co_u32 v47, vcc_lo, v66, v19
	v_add_co_ci_u32_e32 v48, vcc_lo, v67, v20, vcc_lo
	v_lshlrev_b64 v[25:26], 4, v[25:26]
	v_add_co_u32 v49, vcc_lo, v66, v21
	v_add_co_ci_u32_e32 v50, vcc_lo, v67, v22, vcc_lo
	;; [unrolled: 3-line block ×4, first 2 shown]
	v_add_co_u32 v56, vcc_lo, v66, v27
	v_add_co_ci_u32_e32 v57, vcc_lo, v67, v28, vcc_lo
	v_add_co_u32 v58, vcc_lo, v66, v29
	v_add_co_ci_u32_e32 v59, vcc_lo, v67, v30, vcc_lo
	v_add_co_u32 v60, vcc_lo, v66, v31
	v_lshlrev_b64 v[17:18], 4, v[39:40]
	v_add_co_ci_u32_e32 v61, vcc_lo, v67, v32, vcc_lo
	v_add_co_u32 v62, vcc_lo, v66, v33
	v_lshlrev_b64 v[25:26], 4, v[41:42]
	v_add_co_ci_u32_e32 v63, vcc_lo, v67, v34, vcc_lo
	v_add_co_u32 v64, vcc_lo, v66, v17
	v_add_co_ci_u32_e32 v65, vcc_lo, v67, v18, vcc_lo
	v_add_co_u32 v66, vcc_lo, v66, v25
	v_add_co_ci_u32_e32 v67, vcc_lo, v67, v26, vcc_lo
	s_clause 0x10
	global_load_dwordx4 v[1:4], v[1:2], off
	global_load_dwordx4 v[5:8], v[7:8], off
	;; [unrolled: 1-line block ×17, first 2 shown]
	v_add3_u32 v70, 0, v105, v103
	s_waitcnt vmcnt(16)
	ds_write_b128 v70, v[1:4]
	s_waitcnt vmcnt(15)
	ds_write_b128 v70, v[5:8] offset:272
	s_waitcnt vmcnt(14)
	ds_write_b128 v70, v[9:12] offset:544
	s_waitcnt vmcnt(13)
	ds_write_b128 v70, v[13:16] offset:816
	s_waitcnt vmcnt(12)
	ds_write_b128 v70, v[17:20] offset:1088
	s_waitcnt vmcnt(11)
	ds_write_b128 v70, v[21:24] offset:1360
	s_waitcnt vmcnt(10)
	ds_write_b128 v70, v[25:28] offset:1632
	s_waitcnt vmcnt(9)
	ds_write_b128 v70, v[29:32] offset:1904
	s_waitcnt vmcnt(8)
	ds_write_b128 v70, v[33:36] offset:2176
	s_waitcnt vmcnt(7)
	ds_write_b128 v70, v[37:40] offset:2448
	s_waitcnt vmcnt(6)
	ds_write_b128 v70, v[41:44] offset:2720
	s_waitcnt vmcnt(5)
	ds_write_b128 v70, v[45:48] offset:2992
	s_waitcnt vmcnt(4)
	ds_write_b128 v70, v[49:52] offset:3264
	s_waitcnt vmcnt(3)
	ds_write_b128 v70, v[54:57] offset:3536
	s_waitcnt vmcnt(2)
	ds_write_b128 v70, v[58:61] offset:3808
	s_waitcnt vmcnt(1)
	ds_write_b128 v70, v[62:65] offset:4080
	s_waitcnt vmcnt(0)
	ds_write_b128 v70, v[66:69] offset:4352
.LBB0_17:
	s_or_b32 exec_lo, exec_lo, s12
	v_mul_hi_u32 v5, 0xf0f0f10, v0
	s_load_dwordx2 s[2:3], s[6:7], 0x0
	s_waitcnt lgkmcnt(0)
	s_barrier
	buffer_gl0_inv
	s_mov_b32 s34, 0x5d8e7cdc
	s_mov_b32 s26, 0x2a9d6da3
	;; [unrolled: 1-line block ×3, first 2 shown]
	v_add_co_u32 v107, s0, s48, v5
	v_add_co_ci_u32_e64 v6, null, s33, 0, s0
	s_add_u32 s0, 0, 0x92481000
	s_addc_u32 s1, 0, 0x64
	s_mul_hi_u32 s11, s0, -7
	s_add_i32 s1, s1, 0x249248c0
	s_sub_i32 s11, s11, s0
	s_mul_i32 s12, s1, -7
	s_mul_i32 s6, s0, -7
	s_add_i32 s11, s11, s12
	s_mul_hi_u32 s7, s1, s6
	s_mul_i32 s10, s1, s6
	s_mul_i32 s13, s0, s11
	s_mul_hi_u32 s6, s0, s6
	s_mul_hi_u32 s12, s0, s11
	s_add_u32 s6, s6, s13
	s_addc_u32 s12, 0, s12
	s_mul_hi_u32 s13, s1, s11
	s_add_u32 s6, s6, s10
	s_addc_u32 s6, s12, s7
	s_mul_i32 s10, s1, s11
	s_addc_u32 s7, s13, 0
	s_add_u32 s6, s6, s10
	s_addc_u32 s7, 0, s7
	v_add_co_u32 v3, s0, s0, s6
	s_cmp_lg_u32 s0, 0
	s_mov_b32 s12, 0x7c9e640b
	s_addc_u32 s0, s1, s7
	v_mul_hi_u32 v4, v107, v3
	v_mad_u64_u32 v[1:2], null, v107, s0, 0
	s_mov_b32 s46, 0x6c9a05f6
	s_mov_b32 s52, 0x4363dd80
	;; [unrolled: 1-line block ×6, first 2 shown]
	v_add_co_u32 v7, vcc_lo, v4, v1
	v_mad_u64_u32 v[3:4], null, v6, v3, 0
	v_add_co_ci_u32_e32 v8, vcc_lo, 0, v2, vcc_lo
	v_mad_u64_u32 v[1:2], null, v6, s0, 0
	s_mov_b32 s41, 0xbfeec746
	s_mov_b32 s47, 0xbfe9895b
	v_add_co_u32 v3, vcc_lo, v7, v3
	v_add_co_ci_u32_e32 v3, vcc_lo, v8, v4, vcc_lo
	v_add_co_ci_u32_e32 v2, vcc_lo, 0, v2, vcc_lo
	s_mov_b32 s53, 0xbfe0d888
	v_add_co_u32 v1, vcc_lo, v3, v1
	v_add_co_ci_u32_e32 v3, vcc_lo, 0, v2, vcc_lo
	s_mov_b32 s59, 0xbfc7851a
	v_mad_u64_u32 v[1:2], null, v1, 7, 0
	s_mov_b32 s36, 0x370991
	s_mov_b32 s28, 0x75d4884
	;; [unrolled: 1-line block ×6, first 2 shown]
	v_mad_u64_u32 v[2:3], null, v3, 7, v[2:3]
	v_sub_co_u32 v1, vcc_lo, v107, v1
	s_mov_b32 s54, 0x910ea3b9
	s_mov_b32 s60, 0x7faef3
	;; [unrolled: 1-line block ×4, first 2 shown]
	v_sub_co_ci_u32_e32 v2, vcc_lo, v6, v2, vcc_lo
	v_sub_co_u32 v3, vcc_lo, v1, 7
	s_mov_b32 s15, 0x3fdc86fa
	v_subrev_co_ci_u32_e32 v4, vcc_lo, 0, v2, vcc_lo
	v_cmp_lt_u32_e64 s0, 6, v3
	s_mov_b32 s7, 0x3fb79ee6
	s_mov_b32 s43, 0xbfd183b1
	v_cmp_eq_u32_e32 vcc_lo, 0, v4
	s_mov_b32 s49, 0xbfe348c8
	v_cndmask_b32_e64 v4, 0, -1, s0
	v_cmp_lt_u32_e64 s0, 6, v1
	s_mov_b32 s55, 0xbfeb34fa
	s_mov_b32 s61, 0xbfef7484
	;; [unrolled: 1-line block ×3, first 2 shown]
	v_cndmask_b32_e32 v4, -1, v4, vcc_lo
	s_mov_b32 s38, s34
	s_mov_b32 s31, 0x3fe58eea
	;; [unrolled: 1-line block ×4, first 2 shown]
	v_cmp_ne_u32_e32 vcc_lo, 0, v4
	v_add_nc_u32_e32 v4, -7, v3
	s_mov_b32 s20, s12
	s_mov_b32 s11, 0x3fefdd0d
	;; [unrolled: 1-line block ×4, first 2 shown]
	v_cndmask_b32_e32 v3, v3, v4, vcc_lo
	v_cmp_eq_u32_e32 vcc_lo, 0, v2
	v_cndmask_b32_e64 v2, 0, -1, s0
	s_mov_b32 s0, 0xeb564b22
	s_mov_b32 s1, 0xbfefdd0d
	s_mov_b32 s10, s0
	s_mov_b32 s51, 0x3fe9895b
	v_cndmask_b32_e32 v2, -1, v2, vcc_lo
	s_mov_b32 s50, s46
	s_mov_b32 s57, 0x3fe0d888
	;; [unrolled: 1-line block ×4, first 2 shown]
	v_cmp_ne_u32_e32 vcc_lo, 0, v2
	v_mul_u32_u24_e32 v2, 17, v5
	s_mov_b32 s62, s58
	v_cndmask_b32_e32 v1, v1, v3, vcc_lo
	v_sub_nc_u32_e32 v108, v0, v2
	v_mul_u32_u24_e32 v1, 0x121, v1
	v_lshlrev_b32_e32 v52, 4, v108
	v_lshlrev_b32_e32 v0, 4, v1
	v_add_nc_u32_e32 v110, 0, v0
	v_add3_u32 v106, 0, v52, v0
	v_add_nc_u32_e32 v109, v110, v52
	ds_read_b128 v[44:47], v109
	ds_read_b128 v[48:51], v106 offset:272
	ds_read_b128 v[54:57], v106 offset:544
	;; [unrolled: 1-line block ×16, first 2 shown]
	s_waitcnt lgkmcnt(0)
	s_barrier
	buffer_gl0_inv
	v_add_f64 v[0:1], v[44:45], v[48:49]
	v_add_f64 v[2:3], v[46:47], v[50:51]
	;; [unrolled: 1-line block ×3, first 2 shown]
	v_add_f64 v[50:51], v[50:51], -v[72:73]
	v_add_f64 v[74:75], v[48:49], v[70:71]
	v_add_f64 v[48:49], v[48:49], -v[70:71]
	v_add_f64 v[0:1], v[0:1], v[54:55]
	v_add_f64 v[2:3], v[2:3], v[56:57]
	v_mul_f64 v[78:79], v[76:77], s[36:37]
	v_mul_f64 v[82:83], v[50:51], s[26:27]
	;; [unrolled: 1-line block ×14, first 2 shown]
	v_add_f64 v[0:1], v[0:1], v[58:59]
	v_add_f64 v[2:3], v[2:3], v[60:61]
	v_fma_f64 v[80:81], v[48:49], s[38:39], v[78:79]
	v_fma_f64 v[84:85], v[74:75], s[28:29], v[82:83]
	v_fma_f64 v[82:83], v[74:75], s[28:29], -v[82:83]
	v_fma_f64 v[117:118], v[74:75], s[14:15], v[115:116]
	v_fma_f64 v[115:116], v[74:75], s[14:15], -v[115:116]
	;; [unrolled: 2-line block ×6, first 2 shown]
	v_fma_f64 v[78:79], v[48:49], s[34:35], v[78:79]
	v_fma_f64 v[113:114], v[48:49], s[30:31], v[111:112]
	;; [unrolled: 1-line block ×7, first 2 shown]
	v_add_f64 v[0:1], v[0:1], v[36:37]
	v_add_f64 v[2:3], v[2:3], v[38:39]
	v_fma_f64 v[137:138], v[48:49], s[44:45], v[135:136]
	v_add_f64 v[84:85], v[44:45], v[84:85]
	v_add_f64 v[82:83], v[44:45], v[82:83]
	;; [unrolled: 1-line block ×8, first 2 shown]
	v_fma_f64 v[135:136], v[48:49], s[40:41], v[135:136]
	v_add_f64 v[141:142], v[44:45], v[141:142]
	v_fma_f64 v[145:146], v[48:49], s[50:51], v[143:144]
	v_add_f64 v[139:140], v[44:45], v[139:140]
	;; [unrolled: 2-line block ×4, first 2 shown]
	v_fma_f64 v[151:152], v[48:49], s[52:53], v[151:152]
	v_fma_f64 v[157:158], v[48:49], s[62:63], v[76:77]
	;; [unrolled: 1-line block ×3, first 2 shown]
	v_add_f64 v[0:1], v[0:1], v[28:29]
	v_add_f64 v[2:3], v[2:3], v[30:31]
	;; [unrolled: 1-line block ×21, first 2 shown]
	v_add_f64 v[54:55], v[54:55], -v[66:67]
	v_add_f64 v[0:1], v[0:1], v[12:13]
	v_add_f64 v[2:3], v[2:3], v[14:15]
	;; [unrolled: 1-line block ×19, first 2 shown]
	v_mul_f64 v[70:71], v[50:51], s[34:35]
	v_mul_f64 v[50:51], v[50:51], s[58:59]
	v_add_f64 v[2:3], v[2:3], v[72:73]
	v_fma_f64 v[72:73], v[74:75], s[36:37], v[70:71]
	v_fma_f64 v[70:71], v[74:75], s[36:37], -v[70:71]
	v_fma_f64 v[155:156], v[74:75], s[60:61], v[50:51]
	v_fma_f64 v[50:51], v[74:75], s[60:61], -v[50:51]
	v_add_f64 v[72:73], v[44:45], v[72:73]
	v_add_f64 v[70:71], v[44:45], v[70:71]
	;; [unrolled: 1-line block ×5, first 2 shown]
	v_add_f64 v[56:57], v[56:57], -v[68:69]
	v_mul_f64 v[66:67], v[56:57], s[26:27]
	v_fma_f64 v[68:69], v[48:49], s[28:29], v[66:67]
	v_fma_f64 v[66:67], v[48:49], s[28:29], -v[66:67]
	v_add_f64 v[68:69], v[68:69], v[72:73]
	v_mul_f64 v[72:73], v[50:51], s[28:29]
	v_add_f64 v[66:67], v[66:67], v[70:71]
	v_fma_f64 v[74:75], v[54:55], s[30:31], v[72:73]
	v_fma_f64 v[70:71], v[54:55], s[26:27], v[72:73]
	v_mul_f64 v[72:73], v[56:57], s[0:1]
	v_add_f64 v[74:75], v[74:75], v[80:81]
	v_add_f64 v[70:71], v[70:71], v[78:79]
	v_fma_f64 v[76:77], v[48:49], s[6:7], v[72:73]
	v_fma_f64 v[72:73], v[48:49], s[6:7], -v[72:73]
	v_mul_f64 v[78:79], v[50:51], s[6:7]
	v_add_f64 v[76:77], v[76:77], v[84:85]
	v_add_f64 v[72:73], v[72:73], v[82:83]
	v_mul_f64 v[82:83], v[56:57], s[46:47]
	v_fma_f64 v[80:81], v[54:55], s[10:11], v[78:79]
	v_fma_f64 v[78:79], v[54:55], s[0:1], v[78:79]
	v_fma_f64 v[84:85], v[48:49], s[48:49], v[82:83]
	v_fma_f64 v[82:83], v[48:49], s[48:49], -v[82:83]
	v_add_f64 v[78:79], v[78:79], v[111:112]
	v_mul_f64 v[111:112], v[50:51], s[48:49]
	v_add_f64 v[80:81], v[80:81], v[113:114]
	v_add_f64 v[84:85], v[84:85], v[117:118]
	v_add_f64 v[82:83], v[82:83], v[115:116]
	v_mul_f64 v[115:116], v[56:57], s[58:59]
	v_fma_f64 v[113:114], v[54:55], s[50:51], v[111:112]
	v_fma_f64 v[111:112], v[54:55], s[46:47], v[111:112]
	v_fma_f64 v[117:118], v[48:49], s[60:61], v[115:116]
	v_fma_f64 v[115:116], v[48:49], s[60:61], -v[115:116]
	v_add_f64 v[111:112], v[111:112], v[119:120]
	v_mul_f64 v[119:120], v[50:51], s[60:61]
	v_add_f64 v[113:114], v[113:114], v[121:122]
	;; [unrolled: 10-line block ×4, first 2 shown]
	v_add_f64 v[133:134], v[133:134], v[141:142]
	v_add_f64 v[131:132], v[131:132], v[139:140]
	v_mul_f64 v[139:140], v[56:57], s[20:21]
	v_fma_f64 v[137:138], v[54:55], s[40:41], v[135:136]
	v_fma_f64 v[135:136], v[54:55], s[44:45], v[135:136]
	v_mul_f64 v[56:57], v[56:57], s[38:39]
	v_fma_f64 v[141:142], v[48:49], s[14:15], v[139:140]
	v_fma_f64 v[139:140], v[48:49], s[14:15], -v[139:140]
	v_add_f64 v[135:136], v[135:136], v[143:144]
	v_mul_f64 v[143:144], v[50:51], s[14:15]
	v_mul_f64 v[50:51], v[50:51], s[36:37]
	v_add_f64 v[137:138], v[137:138], v[145:146]
	v_add_f64 v[141:142], v[141:142], v[149:150]
	;; [unrolled: 1-line block ×3, first 2 shown]
	v_fma_f64 v[147:148], v[48:49], s[36:37], v[56:57]
	v_fma_f64 v[48:49], v[48:49], s[36:37], -v[56:57]
	v_add_f64 v[56:57], v[60:61], -v[64:65]
	v_fma_f64 v[145:146], v[54:55], s[12:13], v[143:144]
	v_fma_f64 v[143:144], v[54:55], s[20:21], v[143:144]
	;; [unrolled: 1-line block ×3, first 2 shown]
	v_add_f64 v[147:148], v[147:148], v[155:156]
	v_add_f64 v[44:45], v[48:49], v[44:45]
	v_fma_f64 v[48:49], v[54:55], s[38:39], v[50:51]
	v_add_f64 v[54:55], v[58:59], -v[62:63]
	v_add_f64 v[50:51], v[60:61], v[64:65]
	v_add_f64 v[145:146], v[145:146], v[153:154]
	;; [unrolled: 1-line block ×6, first 2 shown]
	v_mul_f64 v[58:59], v[56:57], s[12:13]
	v_mul_f64 v[62:63], v[50:51], s[14:15]
	v_fma_f64 v[60:61], v[48:49], s[14:15], v[58:59]
	v_fma_f64 v[58:59], v[48:49], s[14:15], -v[58:59]
	v_fma_f64 v[64:65], v[54:55], s[20:21], v[62:63]
	v_fma_f64 v[62:63], v[54:55], s[12:13], v[62:63]
	v_add_f64 v[60:61], v[60:61], v[68:69]
	v_add_f64 v[58:59], v[58:59], v[66:67]
	v_mul_f64 v[66:67], v[56:57], s[46:47]
	v_add_f64 v[62:63], v[62:63], v[70:71]
	v_mul_f64 v[70:71], v[50:51], s[48:49]
	v_add_f64 v[64:65], v[64:65], v[74:75]
	v_fma_f64 v[68:69], v[48:49], s[48:49], v[66:67]
	v_fma_f64 v[66:67], v[48:49], s[48:49], -v[66:67]
	v_fma_f64 v[74:75], v[54:55], s[50:51], v[70:71]
	v_fma_f64 v[70:71], v[54:55], s[46:47], v[70:71]
	v_add_f64 v[68:69], v[68:69], v[76:77]
	v_add_f64 v[66:67], v[66:67], v[72:73]
	v_mul_f64 v[72:73], v[56:57], s[62:63]
	v_add_f64 v[70:71], v[70:71], v[78:79]
	v_mul_f64 v[78:79], v[50:51], s[60:61]
	v_add_f64 v[74:75], v[74:75], v[80:81]
	;; [unrolled: 10-line block ×5, first 2 shown]
	v_fma_f64 v[125:126], v[48:49], s[36:37], v[123:124]
	v_fma_f64 v[123:124], v[48:49], s[36:37], -v[123:124]
	v_fma_f64 v[129:130], v[54:55], s[38:39], v[127:128]
	v_fma_f64 v[127:128], v[54:55], s[34:35], v[127:128]
	v_add_f64 v[125:126], v[125:126], v[133:134]
	v_add_f64 v[123:124], v[123:124], v[131:132]
	v_mul_f64 v[131:132], v[56:57], s[0:1]
	v_mul_f64 v[56:57], v[56:57], s[52:53]
	v_add_f64 v[127:128], v[127:128], v[135:136]
	v_mul_f64 v[135:136], v[50:51], s[6:7]
	v_mul_f64 v[50:51], v[50:51], s[54:55]
	v_add_f64 v[129:130], v[129:130], v[137:138]
	v_fma_f64 v[133:134], v[48:49], s[6:7], v[131:132]
	v_fma_f64 v[131:132], v[48:49], s[6:7], -v[131:132]
	v_fma_f64 v[137:138], v[54:55], s[10:11], v[135:136]
	v_fma_f64 v[135:136], v[54:55], s[0:1], v[135:136]
	v_add_f64 v[133:134], v[133:134], v[141:142]
	v_add_f64 v[131:132], v[131:132], v[139:140]
	v_fma_f64 v[139:140], v[48:49], s[54:55], v[56:57]
	v_fma_f64 v[48:49], v[48:49], s[54:55], -v[56:57]
	v_fma_f64 v[141:142], v[54:55], s[56:57], v[50:51]
	v_add_f64 v[137:138], v[137:138], v[145:146]
	v_add_f64 v[135:136], v[135:136], v[143:144]
	;; [unrolled: 1-line block ×4, first 2 shown]
	v_fma_f64 v[48:49], v[54:55], s[52:53], v[50:51]
	v_add_f64 v[50:51], v[38:39], v[42:43]
	v_add_f64 v[38:39], v[38:39], -v[42:43]
	v_add_f64 v[141:142], v[141:142], v[149:150]
	v_add_f64 v[46:47], v[48:49], v[46:47]
	v_add_f64 v[48:49], v[36:37], v[40:41]
	v_add_f64 v[36:37], v[36:37], -v[40:41]
	v_mul_f64 v[40:41], v[38:39], s[0:1]
	v_mul_f64 v[54:55], v[50:51], s[6:7]
	v_fma_f64 v[42:43], v[48:49], s[6:7], v[40:41]
	v_fma_f64 v[40:41], v[48:49], s[6:7], -v[40:41]
	v_fma_f64 v[56:57], v[36:37], s[10:11], v[54:55]
	v_fma_f64 v[54:55], v[36:37], s[0:1], v[54:55]
	v_add_f64 v[42:43], v[42:43], v[60:61]
	v_add_f64 v[40:41], v[40:41], v[58:59]
	v_mul_f64 v[58:59], v[38:39], s[58:59]
	v_add_f64 v[54:55], v[54:55], v[62:63]
	v_mul_f64 v[62:63], v[50:51], s[60:61]
	v_add_f64 v[56:57], v[56:57], v[64:65]
	v_fma_f64 v[60:61], v[48:49], s[60:61], v[58:59]
	v_fma_f64 v[58:59], v[48:49], s[60:61], -v[58:59]
	v_fma_f64 v[64:65], v[36:37], s[62:63], v[62:63]
	v_fma_f64 v[62:63], v[36:37], s[58:59], v[62:63]
	v_add_f64 v[60:61], v[60:61], v[68:69]
	v_add_f64 v[58:59], v[58:59], v[66:67]
	v_mul_f64 v[66:67], v[38:39], s[44:45]
	v_add_f64 v[62:63], v[62:63], v[70:71]
	v_mul_f64 v[70:71], v[50:51], s[42:43]
	v_add_f64 v[64:65], v[64:65], v[74:75]
	;; [unrolled: 10-line block ×5, first 2 shown]
	v_fma_f64 v[117:118], v[48:49], s[54:55], v[115:116]
	v_fma_f64 v[115:116], v[48:49], s[54:55], -v[115:116]
	v_fma_f64 v[121:122], v[36:37], s[56:57], v[119:120]
	v_fma_f64 v[119:120], v[36:37], s[52:53], v[119:120]
	v_add_f64 v[117:118], v[117:118], v[125:126]
	v_add_f64 v[115:116], v[115:116], v[123:124]
	v_mul_f64 v[123:124], v[38:39], s[50:51]
	v_add_f64 v[119:120], v[119:120], v[127:128]
	v_mul_f64 v[127:128], v[50:51], s[48:49]
	v_mul_f64 v[50:51], v[50:51], s[28:29]
	v_add_f64 v[121:122], v[121:122], v[129:130]
	v_mul_f64 v[38:39], v[38:39], s[30:31]
	v_fma_f64 v[125:126], v[48:49], s[48:49], v[123:124]
	v_fma_f64 v[123:124], v[48:49], s[48:49], -v[123:124]
	v_fma_f64 v[129:130], v[36:37], s[46:47], v[127:128]
	v_fma_f64 v[127:128], v[36:37], s[50:51], v[127:128]
	v_add_f64 v[125:126], v[125:126], v[133:134]
	v_fma_f64 v[133:134], v[36:37], s[26:27], v[50:51]
	v_fma_f64 v[36:37], v[36:37], s[30:31], v[50:51]
	v_add_f64 v[123:124], v[123:124], v[131:132]
	v_fma_f64 v[131:132], v[48:49], s[28:29], v[38:39]
	v_fma_f64 v[38:39], v[48:49], s[28:29], -v[38:39]
	v_add_f64 v[129:130], v[129:130], v[137:138]
	v_add_f64 v[137:138], v[14:15], -v[18:19]
	v_add_f64 v[127:128], v[127:128], v[135:136]
	v_add_f64 v[135:136], v[12:13], -v[16:17]
	v_add_f64 v[133:134], v[133:134], v[141:142]
	v_add_f64 v[36:37], v[36:37], v[46:47]
	;; [unrolled: 1-line block ×3, first 2 shown]
	v_add_f64 v[30:31], v[30:31], -v[34:35]
	v_add_f64 v[38:39], v[38:39], v[44:45]
	v_add_f64 v[44:45], v[28:29], v[32:33]
	v_add_f64 v[28:29], v[28:29], -v[32:33]
	v_add_f64 v[131:132], v[131:132], v[139:140]
	v_mul_f64 v[32:33], v[30:31], s[40:41]
	v_fma_f64 v[34:35], v[44:45], s[42:43], v[32:33]
	v_fma_f64 v[32:33], v[44:45], s[42:43], -v[32:33]
	v_add_f64 v[34:35], v[34:35], v[42:43]
	v_mul_f64 v[42:43], v[46:47], s[42:43]
	v_add_f64 v[32:33], v[32:33], v[40:41]
	v_fma_f64 v[48:49], v[28:29], s[44:45], v[42:43]
	v_fma_f64 v[40:41], v[28:29], s[40:41], v[42:43]
	v_mul_f64 v[42:43], v[30:31], s[56:57]
	v_add_f64 v[48:49], v[48:49], v[56:57]
	v_add_f64 v[40:41], v[40:41], v[54:55]
	v_fma_f64 v[50:51], v[44:45], s[54:55], v[42:43]
	v_fma_f64 v[42:43], v[44:45], s[54:55], -v[42:43]
	v_mul_f64 v[54:55], v[46:47], s[54:55]
	v_add_f64 v[50:51], v[50:51], v[60:61]
	v_add_f64 v[42:43], v[42:43], v[58:59]
	v_mul_f64 v[58:59], v[30:31], s[30:31]
	v_fma_f64 v[56:57], v[28:29], s[52:53], v[54:55]
	v_fma_f64 v[54:55], v[28:29], s[56:57], v[54:55]
	v_fma_f64 v[60:61], v[44:45], s[28:29], v[58:59]
	v_fma_f64 v[58:59], v[44:45], s[28:29], -v[58:59]
	v_add_f64 v[54:55], v[54:55], v[62:63]
	v_mul_f64 v[62:63], v[46:47], s[28:29]
	v_add_f64 v[56:57], v[56:57], v[64:65]
	v_add_f64 v[60:61], v[60:61], v[68:69]
	v_add_f64 v[58:59], v[58:59], v[66:67]
	v_mul_f64 v[66:67], v[30:31], s[12:13]
	v_fma_f64 v[64:65], v[28:29], s[26:27], v[62:63]
	v_fma_f64 v[62:63], v[28:29], s[30:31], v[62:63]
	v_fma_f64 v[68:69], v[44:45], s[14:15], v[66:67]
	v_fma_f64 v[66:67], v[44:45], s[14:15], -v[66:67]
	v_add_f64 v[62:63], v[62:63], v[70:71]
	v_mul_f64 v[70:71], v[46:47], s[14:15]
	v_add_f64 v[64:65], v[64:65], v[74:75]
	;; [unrolled: 10-line block ×4, first 2 shown]
	v_add_f64 v[84:85], v[84:85], v[117:118]
	v_add_f64 v[82:83], v[82:83], v[115:116]
	v_mul_f64 v[115:116], v[30:31], s[34:35]
	v_fma_f64 v[113:114], v[28:29], s[0:1], v[111:112]
	v_fma_f64 v[111:112], v[28:29], s[10:11], v[111:112]
	v_mul_f64 v[30:31], v[30:31], s[46:47]
	v_fma_f64 v[117:118], v[44:45], s[36:37], v[115:116]
	v_fma_f64 v[115:116], v[44:45], s[36:37], -v[115:116]
	v_add_f64 v[111:112], v[111:112], v[119:120]
	v_mul_f64 v[119:120], v[46:47], s[36:37]
	v_mul_f64 v[46:47], v[46:47], s[48:49]
	v_add_f64 v[113:114], v[113:114], v[121:122]
	v_add_f64 v[117:118], v[117:118], v[125:126]
	;; [unrolled: 1-line block ×3, first 2 shown]
	v_fma_f64 v[123:124], v[44:45], s[48:49], v[30:31]
	v_fma_f64 v[30:31], v[44:45], s[48:49], -v[30:31]
	v_fma_f64 v[121:122], v[28:29], s[38:39], v[119:120]
	v_fma_f64 v[119:120], v[28:29], s[34:35], v[119:120]
	;; [unrolled: 1-line block ×4, first 2 shown]
	v_add_f64 v[123:124], v[123:124], v[131:132]
	v_add_f64 v[30:31], v[30:31], v[38:39]
	;; [unrolled: 1-line block ×3, first 2 shown]
	v_add_f64 v[22:23], v[22:23], -v[26:27]
	v_add_f64 v[131:132], v[12:13], v[16:17]
	v_add_f64 v[28:29], v[28:29], v[36:37]
	;; [unrolled: 1-line block ×3, first 2 shown]
	v_add_f64 v[20:21], v[20:21], -v[24:25]
	v_mul_f64 v[12:13], v[137:138], s[52:53]
	v_add_f64 v[119:120], v[119:120], v[127:128]
	v_add_f64 v[125:126], v[125:126], v[133:134]
	;; [unrolled: 1-line block ×4, first 2 shown]
	v_mul_f64 v[46:47], v[38:39], s[42:43]
	v_mul_f64 v[24:25], v[22:23], s[46:47]
	v_fma_f64 v[14:15], v[131:132], s[54:55], v[12:13]
	v_fma_f64 v[12:13], v[131:132], s[54:55], -v[12:13]
	v_fma_f64 v[26:27], v[36:37], s[48:49], v[24:25]
	v_fma_f64 v[24:25], v[36:37], s[48:49], -v[24:25]
	v_add_f64 v[26:27], v[26:27], v[34:35]
	v_mul_f64 v[34:35], v[38:39], s[48:49]
	v_add_f64 v[24:25], v[24:25], v[32:33]
	v_fma_f64 v[44:45], v[20:21], s[50:51], v[34:35]
	v_fma_f64 v[32:33], v[20:21], s[46:47], v[34:35]
	v_mul_f64 v[34:35], v[22:23], s[44:45]
	v_add_f64 v[44:45], v[44:45], v[48:49]
	v_add_f64 v[32:33], v[32:33], v[40:41]
	v_fma_f64 v[40:41], v[36:37], s[42:43], v[34:35]
	v_fma_f64 v[34:35], v[36:37], s[42:43], -v[34:35]
	v_fma_f64 v[48:49], v[20:21], s[40:41], v[46:47]
	v_add_f64 v[40:41], v[40:41], v[50:51]
	v_add_f64 v[34:35], v[34:35], v[42:43]
	v_fma_f64 v[42:43], v[20:21], s[44:45], v[46:47]
	v_add_f64 v[48:49], v[48:49], v[56:57]
	v_mul_f64 v[46:47], v[22:23], s[34:35]
	v_add_f64 v[42:43], v[42:43], v[54:55]
	v_mul_f64 v[54:55], v[38:39], s[36:37]
	v_fma_f64 v[50:51], v[36:37], s[36:37], v[46:47]
	v_fma_f64 v[46:47], v[36:37], s[36:37], -v[46:47]
	v_fma_f64 v[56:57], v[20:21], s[38:39], v[54:55]
	v_fma_f64 v[54:55], v[20:21], s[34:35], v[54:55]
	v_add_f64 v[46:47], v[46:47], v[58:59]
	v_mul_f64 v[58:59], v[22:23], s[52:53]
	v_add_f64 v[50:51], v[50:51], v[60:61]
	v_add_f64 v[56:57], v[56:57], v[64:65]
	;; [unrolled: 1-line block ×3, first 2 shown]
	v_mul_f64 v[62:63], v[38:39], s[54:55]
	v_fma_f64 v[60:61], v[36:37], s[54:55], v[58:59]
	v_fma_f64 v[58:59], v[36:37], s[54:55], -v[58:59]
	v_fma_f64 v[64:65], v[20:21], s[56:57], v[62:63]
	v_fma_f64 v[62:63], v[20:21], s[52:53], v[62:63]
	v_add_f64 v[58:59], v[58:59], v[66:67]
	v_mul_f64 v[66:67], v[22:23], s[10:11]
	v_add_f64 v[60:61], v[60:61], v[68:69]
	v_add_f64 v[64:65], v[64:65], v[74:75]
	v_add_f64 v[62:63], v[62:63], v[70:71]
	v_mul_f64 v[70:71], v[38:39], s[6:7]
	v_fma_f64 v[68:69], v[36:37], s[6:7], v[66:67]
	v_fma_f64 v[66:67], v[36:37], s[6:7], -v[66:67]
	v_fma_f64 v[74:75], v[20:21], s[0:1], v[70:71]
	v_fma_f64 v[70:71], v[20:21], s[10:11], v[70:71]
	v_add_f64 v[66:67], v[66:67], v[72:73]
	v_add_f64 v[68:69], v[68:69], v[76:77]
	v_add_f64 v[76:77], v[14:15], v[26:27]
	v_mul_f64 v[14:15], v[133:134], s[54:55]
	v_add_f64 v[80:81], v[74:75], v[80:81]
	v_add_f64 v[78:79], v[70:71], v[78:79]
	v_mul_f64 v[70:71], v[22:23], s[26:27]
	v_fma_f64 v[16:17], v[135:136], s[56:57], v[14:15]
	v_fma_f64 v[72:73], v[36:37], s[28:29], v[70:71]
	v_fma_f64 v[70:71], v[36:37], s[28:29], -v[70:71]
	v_add_f64 v[84:85], v[72:73], v[84:85]
	v_mul_f64 v[72:73], v[38:39], s[28:29]
	v_add_f64 v[82:83], v[70:71], v[82:83]
	v_fma_f64 v[70:71], v[20:21], s[26:27], v[72:73]
	v_fma_f64 v[74:75], v[20:21], s[30:31], v[72:73]
	v_add_f64 v[111:112], v[70:71], v[111:112]
	v_mul_f64 v[70:71], v[22:23], s[58:59]
	v_mul_f64 v[22:23], v[22:23], s[20:21]
	v_add_f64 v[113:114], v[74:75], v[113:114]
	v_fma_f64 v[72:73], v[36:37], s[60:61], v[70:71]
	v_fma_f64 v[70:71], v[36:37], s[60:61], -v[70:71]
	v_add_f64 v[117:118], v[72:73], v[117:118]
	v_mul_f64 v[72:73], v[38:39], s[60:61]
	v_add_f64 v[115:116], v[70:71], v[115:116]
	v_mul_f64 v[38:39], v[38:39], s[14:15]
	v_fma_f64 v[70:71], v[20:21], s[58:59], v[72:73]
	v_fma_f64 v[74:75], v[20:21], s[62:63], v[72:73]
	v_add_f64 v[72:73], v[12:13], v[24:25]
	v_fma_f64 v[12:13], v[135:136], s[52:53], v[14:15]
	v_mul_f64 v[14:15], v[137:138], s[20:21]
	v_add_f64 v[119:120], v[70:71], v[119:120]
	v_fma_f64 v[70:71], v[36:37], s[14:15], v[22:23]
	v_add_f64 v[121:122], v[74:75], v[121:122]
	v_add_f64 v[18:19], v[12:13], v[32:33]
	v_fma_f64 v[12:13], v[131:132], s[14:15], v[14:15]
	v_add_f64 v[74:75], v[16:17], v[44:45]
	v_fma_f64 v[22:23], v[36:37], s[14:15], -v[22:23]
	v_fma_f64 v[14:15], v[131:132], s[14:15], -v[14:15]
	v_mul_f64 v[32:33], v[137:138], s[50:51]
	v_add_f64 v[123:124], v[70:71], v[123:124]
	v_fma_f64 v[70:71], v[20:21], s[12:13], v[38:39]
	v_fma_f64 v[20:21], v[20:21], s[20:21], v[38:39]
	v_add_f64 v[16:17], v[12:13], v[40:41]
	v_mul_f64 v[40:41], v[137:138], s[34:35]
	v_add_f64 v[127:128], v[22:23], v[30:31]
	v_add_f64 v[14:15], v[14:15], v[34:35]
	v_mul_f64 v[34:35], v[133:134], s[48:49]
	v_add_f64 v[125:126], v[70:71], v[125:126]
	v_add_f64 v[129:130], v[20:21], v[28:29]
	v_mul_f64 v[20:21], v[133:134], s[14:15]
	v_fma_f64 v[36:37], v[131:132], s[36:37], v[40:41]
	v_fma_f64 v[28:29], v[131:132], s[48:49], v[32:33]
	v_fma_f64 v[32:33], v[131:132], s[48:49], -v[32:33]
	v_fma_f64 v[30:31], v[135:136], s[46:47], v[34:35]
	v_fma_f64 v[34:35], v[135:136], s[50:51], v[34:35]
	v_fma_f64 v[40:41], v[131:132], s[36:37], -v[40:41]
	v_fma_f64 v[12:13], v[135:136], s[12:13], v[20:21]
	v_fma_f64 v[20:21], v[135:136], s[20:21], v[20:21]
	v_add_f64 v[36:37], v[36:37], v[68:69]
	v_add_f64 v[32:33], v[32:33], v[58:59]
	;; [unrolled: 1-line block ×8, first 2 shown]
	v_mul_f64 v[20:21], v[137:138], s[0:1]
	v_mul_f64 v[42:43], v[133:134], s[36:37]
	v_mul_f64 v[48:49], v[137:138], s[58:59]
	v_fma_f64 v[22:23], v[131:132], s[6:7], v[20:21]
	v_fma_f64 v[38:39], v[135:136], s[38:39], v[42:43]
	;; [unrolled: 1-line block ×4, first 2 shown]
	v_fma_f64 v[48:49], v[131:132], s[60:61], -v[48:49]
	v_fma_f64 v[20:21], v[131:132], s[6:7], -v[20:21]
	v_add_f64 v[24:25], v[22:23], v[50:51]
	v_mul_f64 v[22:23], v[133:134], s[6:7]
	v_add_f64 v[42:43], v[42:43], v[78:79]
	v_mul_f64 v[78:79], v[133:134], s[42:43]
	v_add_f64 v[44:45], v[44:45], v[84:85]
	v_add_f64 v[84:85], v[6:7], -v[10:11]
	v_add_f64 v[38:39], v[38:39], v[80:81]
	v_add_f64 v[48:49], v[48:49], v[82:83]
	;; [unrolled: 1-line block ×5, first 2 shown]
	v_mul_f64 v[50:51], v[133:134], s[60:61]
	v_fma_f64 v[26:27], v[135:136], s[10:11], v[22:23]
	v_fma_f64 v[22:23], v[135:136], s[0:1], v[22:23]
	v_mul_f64 v[10:11], v[82:83], s[60:61]
	v_fma_f64 v[46:47], v[135:136], s[62:63], v[50:51]
	v_fma_f64 v[50:51], v[135:136], s[58:59], v[50:51]
	v_add_f64 v[26:27], v[26:27], v[56:57]
	v_add_f64 v[22:23], v[22:23], v[54:55]
	v_mul_f64 v[54:55], v[137:138], s[30:31]
	v_add_f64 v[46:47], v[46:47], v[113:114]
	v_add_f64 v[50:51], v[50:51], v[111:112]
	v_fma_f64 v[56:57], v[131:132], s[28:29], v[54:55]
	v_fma_f64 v[54:55], v[131:132], s[28:29], -v[54:55]
	v_add_f64 v[68:69], v[56:57], v[117:118]
	v_mul_f64 v[56:57], v[133:134], s[28:29]
	v_add_f64 v[64:65], v[54:55], v[115:116]
	v_fma_f64 v[54:55], v[135:136], s[30:31], v[56:57]
	v_fma_f64 v[58:59], v[135:136], s[26:27], v[56:57]
	v_add_f64 v[62:63], v[54:55], v[119:120]
	v_mul_f64 v[54:55], v[137:138], s[40:41]
	v_add_f64 v[66:67], v[58:59], v[121:122]
	v_fma_f64 v[56:57], v[131:132], s[42:43], v[54:55]
	v_fma_f64 v[54:55], v[131:132], s[42:43], -v[54:55]
	v_add_f64 v[60:61], v[56:57], v[123:124]
	v_fma_f64 v[56:57], v[135:136], s[44:45], v[78:79]
	v_add_f64 v[58:59], v[56:57], v[125:126]
	v_add_f64 v[56:57], v[54:55], v[127:128]
	v_fma_f64 v[54:55], v[135:136], s[40:41], v[78:79]
	v_add_f64 v[78:79], v[4:5], -v[8:9]
	v_mul_f64 v[8:9], v[84:85], s[58:59]
	v_add_f64 v[54:55], v[54:55], v[129:130]
	v_fma_f64 v[6:7], v[78:79], s[62:63], v[10:11]
	v_fma_f64 v[4:5], v[80:81], s[60:61], v[8:9]
	v_fma_f64 v[8:9], v[80:81], s[60:61], -v[8:9]
	v_fma_f64 v[10:11], v[78:79], s[58:59], v[10:11]
	v_add_f64 v[6:7], v[6:7], v[74:75]
	v_mul_f64 v[74:75], v[82:83], s[36:37]
	v_add_f64 v[8:9], v[8:9], v[72:73]
	v_mul_f64 v[72:73], v[84:85], s[38:39]
	v_add_f64 v[10:11], v[10:11], v[18:19]
	v_add_f64 v[4:5], v[4:5], v[76:77]
	v_fma_f64 v[18:19], v[80:81], s[36:37], v[72:73]
	v_add_f64 v[16:17], v[18:19], v[16:17]
	v_fma_f64 v[18:19], v[78:79], s[34:35], v[74:75]
	v_add_f64 v[18:19], v[18:19], v[12:13]
	v_fma_f64 v[12:13], v[80:81], s[36:37], -v[72:73]
	v_add_f64 v[12:13], v[12:13], v[14:15]
	v_fma_f64 v[14:15], v[78:79], s[38:39], v[74:75]
	v_add_f64 v[14:15], v[14:15], v[70:71]
	v_mul_f64 v[70:71], v[84:85], s[52:53]
	v_fma_f64 v[72:73], v[80:81], s[54:55], v[70:71]
	v_fma_f64 v[70:71], v[80:81], s[54:55], -v[70:71]
	v_add_f64 v[24:25], v[72:73], v[24:25]
	v_mul_f64 v[72:73], v[82:83], s[54:55]
	v_add_f64 v[20:21], v[70:71], v[20:21]
	v_fma_f64 v[70:71], v[78:79], s[52:53], v[72:73]
	v_fma_f64 v[74:75], v[78:79], s[56:57], v[72:73]
	v_add_f64 v[22:23], v[70:71], v[22:23]
	v_mul_f64 v[70:71], v[84:85], s[30:31]
	v_add_f64 v[26:27], v[74:75], v[26:27]
	v_fma_f64 v[72:73], v[80:81], s[28:29], v[70:71]
	v_fma_f64 v[70:71], v[80:81], s[28:29], -v[70:71]
	v_add_f64 v[28:29], v[72:73], v[28:29]
	v_mul_f64 v[72:73], v[82:83], s[28:29]
	v_add_f64 v[32:33], v[70:71], v[32:33]
	v_fma_f64 v[70:71], v[78:79], s[30:31], v[72:73]
	v_fma_f64 v[74:75], v[78:79], s[26:27], v[72:73]
	v_add_f64 v[34:35], v[70:71], v[34:35]
	v_mul_f64 v[70:71], v[84:85], s[46:47]
	v_add_f64 v[30:31], v[74:75], v[30:31]
	;; [unrolled: 10-line block ×3, first 2 shown]
	v_fma_f64 v[72:73], v[80:81], s[14:15], v[70:71]
	v_fma_f64 v[70:71], v[80:81], s[14:15], -v[70:71]
	v_add_f64 v[44:45], v[72:73], v[44:45]
	v_mul_f64 v[72:73], v[82:83], s[14:15]
	v_add_f64 v[48:49], v[70:71], v[48:49]
	v_fma_f64 v[74:75], v[78:79], s[12:13], v[72:73]
	v_fma_f64 v[70:71], v[78:79], s[20:21], v[72:73]
	v_mul_f64 v[72:73], v[84:85], s[40:41]
	v_add_f64 v[46:47], v[74:75], v[46:47]
	v_add_f64 v[50:51], v[70:71], v[50:51]
	v_fma_f64 v[70:71], v[80:81], s[42:43], v[72:73]
	v_mul_f64 v[74:75], v[82:83], s[42:43]
	v_add_f64 v[68:69], v[70:71], v[68:69]
	v_fma_f64 v[70:71], v[78:79], s[44:45], v[74:75]
	v_add_f64 v[70:71], v[70:71], v[66:67]
	v_fma_f64 v[66:67], v[80:81], s[42:43], -v[72:73]
	v_mul_f64 v[72:73], v[84:85], s[10:11]
	v_add_f64 v[64:65], v[66:67], v[64:65]
	v_fma_f64 v[66:67], v[78:79], s[40:41], v[74:75]
	v_mul_f64 v[74:75], v[82:83], s[6:7]
	v_add_f64 v[66:67], v[66:67], v[62:63]
	v_fma_f64 v[62:63], v[80:81], s[6:7], v[72:73]
	v_add_f64 v[60:61], v[62:63], v[60:61]
	v_fma_f64 v[62:63], v[78:79], s[0:1], v[74:75]
	v_add_f64 v[62:63], v[62:63], v[58:59]
	v_fma_f64 v[58:59], v[80:81], s[6:7], -v[72:73]
	v_add_f64 v[56:57], v[58:59], v[56:57]
	v_fma_f64 v[58:59], v[78:79], s[10:11], v[74:75]
	v_add_f64 v[58:59], v[58:59], v[54:55]
	v_mad_i32_i24 v54, 0x110, v108, v110
	ds_write_b128 v54, v[0:3]
	ds_write_b128 v54, v[4:7] offset:16
	ds_write_b128 v54, v[16:19] offset:32
	ds_write_b128 v54, v[24:27] offset:48
	ds_write_b128 v54, v[28:31] offset:64
	ds_write_b128 v54, v[36:39] offset:80
	ds_write_b128 v54, v[44:47] offset:96
	ds_write_b128 v54, v[68:71] offset:112
	ds_write_b128 v54, v[60:63] offset:128
	ds_write_b128 v54, v[56:59] offset:144
	ds_write_b128 v54, v[64:67] offset:160
	ds_write_b128 v54, v[48:51] offset:176
	ds_write_b128 v54, v[40:43] offset:192
	ds_write_b128 v54, v[32:35] offset:208
	ds_write_b128 v54, v[20:23] offset:224
	ds_write_b128 v54, v[12:15] offset:240
	ds_write_b128 v54, v[8:11] offset:256
	v_lshlrev_b64 v[48:49], 4, v[52:53]
	s_waitcnt lgkmcnt(0)
	s_barrier
	buffer_gl0_inv
	ds_read_b128 v[0:3], v109
	ds_read_b128 v[36:39], v106 offset:272
	ds_read_b128 v[40:43], v106 offset:544
	;; [unrolled: 1-line block ×16, first 2 shown]
	v_add_co_u32 v109, vcc_lo, s24, v48
	v_add_co_ci_u32_e32 v110, vcc_lo, s25, v49, vcc_lo
	s_clause 0x3
	global_load_dwordx4 v[82:85], v[109:110], off offset:48
	global_load_dwordx4 v[48:51], v[109:110], off offset:32
	;; [unrolled: 1-line block ×3, first 2 shown]
	global_load_dwordx4 v[62:65], v[109:110], off
	s_waitcnt vmcnt(0) lgkmcnt(15)
	v_mul_f64 v[52:53], v[38:39], v[64:65]
	v_fma_f64 v[111:112], v[36:37], v[62:63], v[52:53]
	v_mul_f64 v[36:37], v[36:37], v[64:65]
	v_fma_f64 v[113:114], v[38:39], v[62:63], -v[36:37]
	s_waitcnt lgkmcnt(14)
	v_mul_f64 v[36:37], v[42:43], v[60:61]
	v_fma_f64 v[62:63], v[40:41], v[58:59], v[36:37]
	v_mul_f64 v[36:37], v[40:41], v[60:61]
	v_fma_f64 v[64:65], v[42:43], v[58:59], -v[36:37]
	s_waitcnt lgkmcnt(13)
	;; [unrolled: 5-line block ×3, first 2 shown]
	v_mul_f64 v[36:37], v[56:57], v[84:85]
	v_fma_f64 v[50:51], v[54:55], v[82:83], v[36:37]
	v_mul_f64 v[36:37], v[54:55], v[84:85]
	v_fma_f64 v[52:53], v[56:57], v[82:83], -v[36:37]
	s_clause 0x3
	global_load_dwordx4 v[82:85], v[109:110], off offset:112
	global_load_dwordx4 v[36:39], v[109:110], off offset:96
	;; [unrolled: 1-line block ×4, first 2 shown]
	s_waitcnt vmcnt(0) lgkmcnt(11)
	v_mul_f64 v[48:49], v[68:69], v[46:47]
	v_mul_f64 v[46:47], v[66:67], v[46:47]
	v_fma_f64 v[54:55], v[66:67], v[44:45], v[48:49]
	v_fma_f64 v[56:57], v[68:69], v[44:45], -v[46:47]
	s_waitcnt lgkmcnt(10)
	v_mul_f64 v[44:45], v[72:73], v[42:43]
	v_mul_f64 v[42:43], v[70:71], v[42:43]
	v_fma_f64 v[46:47], v[70:71], v[40:41], v[44:45]
	v_fma_f64 v[48:49], v[72:73], v[40:41], -v[42:43]
	s_waitcnt lgkmcnt(9)
	;; [unrolled: 5-line block ×3, first 2 shown]
	v_mul_f64 v[36:37], v[80:81], v[84:85]
	v_mul_f64 v[38:39], v[78:79], v[84:85]
	v_fma_f64 v[36:37], v[78:79], v[82:83], v[36:37]
	v_fma_f64 v[38:39], v[80:81], v[82:83], -v[38:39]
	s_clause 0x3
	global_load_dwordx4 v[66:69], v[109:110], off offset:176
	global_load_dwordx4 v[70:73], v[109:110], off offset:160
	;; [unrolled: 1-line block ×4, first 2 shown]
	s_waitcnt vmcnt(0) lgkmcnt(7)
	v_mul_f64 v[44:45], v[34:35], v[80:81]
	v_fma_f64 v[44:45], v[32:33], v[78:79], v[44:45]
	v_mul_f64 v[32:33], v[32:33], v[80:81]
	v_fma_f64 v[32:33], v[34:35], v[78:79], -v[32:33]
	s_waitcnt lgkmcnt(6)
	v_mul_f64 v[34:35], v[30:31], v[76:77]
	v_fma_f64 v[34:35], v[28:29], v[74:75], v[34:35]
	v_mul_f64 v[28:29], v[28:29], v[76:77]
	v_fma_f64 v[28:29], v[30:31], v[74:75], -v[28:29]
	s_waitcnt lgkmcnt(5)
	;; [unrolled: 5-line block ×3, first 2 shown]
	v_mul_f64 v[26:27], v[22:23], v[68:69]
	v_fma_f64 v[26:27], v[20:21], v[66:67], v[26:27]
	v_mul_f64 v[20:21], v[20:21], v[68:69]
	v_fma_f64 v[78:79], v[22:23], v[66:67], -v[20:21]
	s_clause 0x3
	global_load_dwordx4 v[20:23], v[109:110], off offset:240
	global_load_dwordx4 v[66:69], v[109:110], off offset:224
	;; [unrolled: 1-line block ×4, first 2 shown]
	s_waitcnt vmcnt(0) lgkmcnt(3)
	v_mul_f64 v[80:81], v[18:19], v[76:77]
	v_fma_f64 v[80:81], v[16:17], v[74:75], v[80:81]
	v_mul_f64 v[16:17], v[16:17], v[76:77]
	v_fma_f64 v[16:17], v[18:19], v[74:75], -v[16:17]
	s_waitcnt lgkmcnt(2)
	v_mul_f64 v[18:19], v[14:15], v[72:73]
	v_fma_f64 v[18:19], v[12:13], v[70:71], v[18:19]
	v_mul_f64 v[12:13], v[12:13], v[72:73]
	v_fma_f64 v[12:13], v[14:15], v[70:71], -v[12:13]
	s_waitcnt lgkmcnt(1)
	v_mul_f64 v[14:15], v[10:11], v[68:69]
	v_fma_f64 v[14:15], v[8:9], v[66:67], v[14:15]
	v_mul_f64 v[8:9], v[8:9], v[68:69]
	v_fma_f64 v[8:9], v[10:11], v[66:67], -v[8:9]
	s_waitcnt lgkmcnt(0)
	v_mul_f64 v[10:11], v[6:7], v[22:23]
	v_fma_f64 v[10:11], v[4:5], v[20:21], v[10:11]
	v_mul_f64 v[4:5], v[4:5], v[22:23]
	v_add_f64 v[22:23], v[111:112], v[10:11]
	v_fma_f64 v[20:21], v[6:7], v[20:21], -v[4:5]
	v_add_f64 v[6:7], v[2:3], v[113:114]
	v_add_f64 v[4:5], v[0:1], v[111:112]
	;; [unrolled: 1-line block ×5, first 2 shown]
	v_mul_f64 v[72:73], v[66:67], s[36:37]
	v_add_f64 v[6:7], v[6:7], v[60:61]
	v_add_f64 v[4:5], v[4:5], v[58:59]
	v_mul_f64 v[84:85], v[66:67], s[28:29]
	v_mul_f64 v[115:116], v[66:67], s[14:15]
	;; [unrolled: 1-line block ×7, first 2 shown]
	v_add_f64 v[6:7], v[6:7], v[52:53]
	v_add_f64 v[4:5], v[4:5], v[50:51]
	;; [unrolled: 1-line block ×25, first 2 shown]
	v_add_f64 v[20:21], v[113:114], -v[20:21]
	v_add_f64 v[4:5], v[4:5], v[10:11]
	v_add_f64 v[10:11], v[111:112], -v[10:11]
	v_mul_f64 v[68:69], v[20:21], s[34:35]
	v_mul_f64 v[76:77], v[20:21], s[26:27]
	;; [unrolled: 1-line block ×8, first 2 shown]
	v_fma_f64 v[74:75], v[10:11], s[38:39], v[72:73]
	v_fma_f64 v[72:73], v[10:11], s[34:35], v[72:73]
	;; [unrolled: 1-line block ×15, first 2 shown]
	v_fma_f64 v[68:69], v[22:23], s[36:37], -v[68:69]
	v_fma_f64 v[82:83], v[22:23], s[28:29], v[76:77]
	v_fma_f64 v[76:77], v[22:23], s[28:29], -v[76:77]
	v_fma_f64 v[113:114], v[22:23], s[14:15], v[111:112]
	;; [unrolled: 2-line block ×8, first 2 shown]
	v_fma_f64 v[10:11], v[10:11], s[58:59], v[66:67]
	v_add_f64 v[74:75], v[2:3], v[74:75]
	v_add_f64 v[72:73], v[2:3], v[72:73]
	v_add_f64 v[109:110], v[2:3], v[109:110]
	v_add_f64 v[84:85], v[2:3], v[84:85]
	v_add_f64 v[70:71], v[0:1], v[70:71]
	v_add_f64 v[68:69], v[0:1], v[68:69]
	v_add_f64 v[82:83], v[0:1], v[82:83]
	v_add_f64 v[76:77], v[0:1], v[76:77]
	v_add_f64 v[113:114], v[0:1], v[113:114]
	v_add_f64 v[111:112], v[0:1], v[111:112]
	v_add_f64 v[121:122], v[0:1], v[121:122]
	v_add_f64 v[119:120], v[0:1], v[119:120]
	v_add_f64 v[129:130], v[0:1], v[129:130]
	v_add_f64 v[127:128], v[0:1], v[127:128]
	v_add_f64 v[137:138], v[0:1], v[137:138]
	v_add_f64 v[135:136], v[0:1], v[135:136]
	v_add_f64 v[145:146], v[0:1], v[145:146]
	v_add_f64 v[143:144], v[0:1], v[143:144]
	v_add_f64 v[151:152], v[0:1], v[151:152]
	v_add_f64 v[0:1], v[0:1], v[20:21]
	v_add_f64 v[20:21], v[64:65], v[8:9]
	v_add_f64 v[8:9], v[64:65], -v[8:9]
	v_add_f64 v[117:118], v[2:3], v[117:118]
	v_add_f64 v[115:116], v[2:3], v[115:116]
	;; [unrolled: 1-line block ×13, first 2 shown]
	v_add_f64 v[14:15], v[62:63], -v[14:15]
	v_mul_f64 v[64:65], v[20:21], s[28:29]
	v_mul_f64 v[22:23], v[8:9], s[26:27]
	v_fma_f64 v[66:67], v[14:15], s[30:31], v[64:65]
	v_fma_f64 v[62:63], v[10:11], s[28:29], v[22:23]
	v_fma_f64 v[22:23], v[10:11], s[28:29], -v[22:23]
	v_fma_f64 v[64:65], v[14:15], s[26:27], v[64:65]
	v_add_f64 v[66:67], v[66:67], v[74:75]
	v_add_f64 v[62:63], v[62:63], v[70:71]
	;; [unrolled: 1-line block ×3, first 2 shown]
	v_mul_f64 v[68:69], v[8:9], s[0:1]
	v_add_f64 v[64:65], v[64:65], v[72:73]
	v_mul_f64 v[72:73], v[20:21], s[6:7]
	v_fma_f64 v[70:71], v[10:11], s[6:7], v[68:69]
	v_fma_f64 v[68:69], v[10:11], s[6:7], -v[68:69]
	v_fma_f64 v[74:75], v[14:15], s[10:11], v[72:73]
	v_fma_f64 v[72:73], v[14:15], s[0:1], v[72:73]
	v_add_f64 v[70:71], v[70:71], v[82:83]
	v_add_f64 v[68:69], v[68:69], v[76:77]
	v_mul_f64 v[76:77], v[8:9], s[46:47]
	v_add_f64 v[72:73], v[72:73], v[84:85]
	v_mul_f64 v[84:85], v[20:21], s[48:49]
	v_add_f64 v[74:75], v[74:75], v[109:110]
	v_fma_f64 v[82:83], v[10:11], s[48:49], v[76:77]
	v_fma_f64 v[76:77], v[10:11], s[48:49], -v[76:77]
	v_fma_f64 v[109:110], v[14:15], s[50:51], v[84:85]
	v_fma_f64 v[84:85], v[14:15], s[46:47], v[84:85]
	v_add_f64 v[82:83], v[82:83], v[113:114]
	v_add_f64 v[76:77], v[76:77], v[111:112]
	v_mul_f64 v[111:112], v[8:9], s[58:59]
	v_add_f64 v[84:85], v[84:85], v[115:116]
	v_mul_f64 v[115:116], v[20:21], s[60:61]
	v_add_f64 v[109:110], v[109:110], v[117:118]
	;; [unrolled: 10-line block ×4, first 2 shown]
	v_fma_f64 v[129:130], v[10:11], s[42:43], v[127:128]
	v_fma_f64 v[127:128], v[10:11], s[42:43], -v[127:128]
	v_fma_f64 v[133:134], v[14:15], s[40:41], v[131:132]
	v_fma_f64 v[131:132], v[14:15], s[44:45], v[131:132]
	v_add_f64 v[129:130], v[129:130], v[137:138]
	v_add_f64 v[127:128], v[127:128], v[135:136]
	v_mul_f64 v[135:136], v[8:9], s[20:21]
	v_mul_f64 v[8:9], v[8:9], s[38:39]
	v_add_f64 v[131:132], v[131:132], v[139:140]
	v_mul_f64 v[139:140], v[20:21], s[14:15]
	v_mul_f64 v[20:21], v[20:21], s[36:37]
	v_add_f64 v[133:134], v[133:134], v[141:142]
	v_fma_f64 v[137:138], v[10:11], s[14:15], v[135:136]
	v_fma_f64 v[135:136], v[10:11], s[14:15], -v[135:136]
	v_fma_f64 v[141:142], v[14:15], s[12:13], v[139:140]
	v_fma_f64 v[139:140], v[14:15], s[20:21], v[139:140]
	v_add_f64 v[137:138], v[137:138], v[145:146]
	v_add_f64 v[135:136], v[135:136], v[143:144]
	v_fma_f64 v[143:144], v[10:11], s[36:37], v[8:9]
	v_fma_f64 v[8:9], v[10:11], s[36:37], -v[8:9]
	v_add_f64 v[10:11], v[60:61], v[12:13]
	v_add_f64 v[12:13], v[60:61], -v[12:13]
	v_fma_f64 v[145:146], v[14:15], s[34:35], v[20:21]
	v_add_f64 v[139:140], v[139:140], v[147:148]
	v_add_f64 v[141:142], v[141:142], v[149:150]
	v_add_f64 v[143:144], v[143:144], v[151:152]
	v_add_f64 v[0:1], v[8:9], v[0:1]
	v_fma_f64 v[8:9], v[14:15], s[38:39], v[20:21]
	v_add_f64 v[14:15], v[58:59], -v[18:19]
	v_add_f64 v[145:146], v[145:146], v[153:154]
	v_add_f64 v[2:3], v[8:9], v[2:3]
	;; [unrolled: 1-line block ×3, first 2 shown]
	v_mul_f64 v[18:19], v[12:13], s[12:13]
	v_mul_f64 v[58:59], v[10:11], s[14:15]
	v_fma_f64 v[20:21], v[8:9], s[14:15], v[18:19]
	v_fma_f64 v[18:19], v[8:9], s[14:15], -v[18:19]
	v_fma_f64 v[60:61], v[14:15], s[20:21], v[58:59]
	v_add_f64 v[20:21], v[20:21], v[62:63]
	v_add_f64 v[18:19], v[18:19], v[22:23]
	v_fma_f64 v[22:23], v[14:15], s[12:13], v[58:59]
	v_mul_f64 v[58:59], v[12:13], s[46:47]
	v_add_f64 v[60:61], v[60:61], v[66:67]
	v_add_f64 v[22:23], v[22:23], v[64:65]
	v_fma_f64 v[62:63], v[8:9], s[48:49], v[58:59]
	v_fma_f64 v[58:59], v[8:9], s[48:49], -v[58:59]
	v_mul_f64 v[64:65], v[10:11], s[48:49]
	v_add_f64 v[62:63], v[62:63], v[70:71]
	v_add_f64 v[58:59], v[58:59], v[68:69]
	v_mul_f64 v[68:69], v[12:13], s[62:63]
	v_fma_f64 v[66:67], v[14:15], s[50:51], v[64:65]
	v_fma_f64 v[64:65], v[14:15], s[46:47], v[64:65]
	v_fma_f64 v[70:71], v[8:9], s[60:61], v[68:69]
	v_fma_f64 v[68:69], v[8:9], s[60:61], -v[68:69]
	v_add_f64 v[64:65], v[64:65], v[72:73]
	v_mul_f64 v[72:73], v[10:11], s[60:61]
	v_add_f64 v[66:67], v[66:67], v[74:75]
	v_add_f64 v[70:71], v[70:71], v[82:83]
	v_add_f64 v[68:69], v[68:69], v[76:77]
	v_mul_f64 v[76:77], v[12:13], s[44:45]
	v_fma_f64 v[74:75], v[14:15], s[58:59], v[72:73]
	v_fma_f64 v[72:73], v[14:15], s[62:63], v[72:73]
	v_fma_f64 v[82:83], v[8:9], s[42:43], v[76:77]
	v_fma_f64 v[76:77], v[8:9], s[42:43], -v[76:77]
	v_add_f64 v[72:73], v[72:73], v[84:85]
	v_mul_f64 v[84:85], v[10:11], s[42:43]
	v_add_f64 v[74:75], v[74:75], v[109:110]
	;; [unrolled: 10-line block ×4, first 2 shown]
	v_add_f64 v[121:122], v[121:122], v[129:130]
	v_add_f64 v[119:120], v[119:120], v[127:128]
	v_mul_f64 v[127:128], v[12:13], s[0:1]
	v_fma_f64 v[125:126], v[14:15], s[38:39], v[123:124]
	v_fma_f64 v[123:124], v[14:15], s[34:35], v[123:124]
	v_mul_f64 v[12:13], v[12:13], s[52:53]
	v_fma_f64 v[129:130], v[8:9], s[6:7], v[127:128]
	v_fma_f64 v[127:128], v[8:9], s[6:7], -v[127:128]
	v_add_f64 v[123:124], v[123:124], v[131:132]
	v_mul_f64 v[131:132], v[10:11], s[6:7]
	v_mul_f64 v[10:11], v[10:11], s[54:55]
	v_add_f64 v[125:126], v[125:126], v[133:134]
	v_add_f64 v[129:130], v[129:130], v[137:138]
	;; [unrolled: 1-line block ×3, first 2 shown]
	v_fma_f64 v[135:136], v[8:9], s[54:55], v[12:13]
	v_fma_f64 v[8:9], v[8:9], s[54:55], -v[12:13]
	v_fma_f64 v[133:134], v[14:15], s[10:11], v[131:132]
	v_fma_f64 v[131:132], v[14:15], s[0:1], v[131:132]
	v_fma_f64 v[137:138], v[14:15], s[56:57], v[10:11]
	v_add_f64 v[12:13], v[50:51], -v[80:81]
	v_add_f64 v[135:136], v[135:136], v[143:144]
	v_add_f64 v[0:1], v[8:9], v[0:1]
	v_fma_f64 v[8:9], v[14:15], s[52:53], v[10:11]
	v_add_f64 v[14:15], v[52:53], -v[16:17]
	v_add_f64 v[10:11], v[52:53], v[16:17]
	v_add_f64 v[131:132], v[131:132], v[139:140]
	;; [unrolled: 1-line block ×6, first 2 shown]
	v_mul_f64 v[16:17], v[14:15], s[0:1]
	v_fma_f64 v[50:51], v[8:9], s[6:7], v[16:17]
	v_fma_f64 v[16:17], v[8:9], s[6:7], -v[16:17]
	v_add_f64 v[20:21], v[50:51], v[20:21]
	v_mul_f64 v[50:51], v[10:11], s[6:7]
	v_add_f64 v[16:17], v[16:17], v[18:19]
	v_fma_f64 v[18:19], v[12:13], s[0:1], v[50:51]
	v_fma_f64 v[52:53], v[12:13], s[10:11], v[50:51]
	v_add_f64 v[18:19], v[18:19], v[22:23]
	v_mul_f64 v[22:23], v[14:15], s[58:59]
	v_add_f64 v[52:53], v[52:53], v[60:61]
	v_mul_f64 v[60:61], v[10:11], s[60:61]
	v_fma_f64 v[50:51], v[8:9], s[60:61], v[22:23]
	v_fma_f64 v[22:23], v[8:9], s[60:61], -v[22:23]
	v_add_f64 v[50:51], v[50:51], v[62:63]
	v_fma_f64 v[62:63], v[12:13], s[62:63], v[60:61]
	v_add_f64 v[22:23], v[22:23], v[58:59]
	v_fma_f64 v[58:59], v[12:13], s[58:59], v[60:61]
	v_mul_f64 v[60:61], v[14:15], s[44:45]
	v_add_f64 v[62:63], v[62:63], v[66:67]
	v_mul_f64 v[66:67], v[10:11], s[42:43]
	v_add_f64 v[58:59], v[58:59], v[64:65]
	v_fma_f64 v[64:65], v[8:9], s[42:43], v[60:61]
	v_fma_f64 v[60:61], v[8:9], s[42:43], -v[60:61]
	v_add_f64 v[64:65], v[64:65], v[70:71]
	v_fma_f64 v[70:71], v[12:13], s[40:41], v[66:67]
	v_add_f64 v[60:61], v[60:61], v[68:69]
	v_fma_f64 v[66:67], v[12:13], s[44:45], v[66:67]
	v_mul_f64 v[68:69], v[14:15], s[38:39]
	v_add_f64 v[70:71], v[70:71], v[74:75]
	v_mul_f64 v[74:75], v[10:11], s[36:37]
	v_add_f64 v[66:67], v[66:67], v[72:73]
	v_fma_f64 v[72:73], v[8:9], s[36:37], v[68:69]
	v_fma_f64 v[68:69], v[8:9], s[36:37], -v[68:69]
	v_fma_f64 v[80:81], v[12:13], s[34:35], v[74:75]
	v_fma_f64 v[74:75], v[12:13], s[38:39], v[74:75]
	v_add_f64 v[72:73], v[72:73], v[82:83]
	v_add_f64 v[68:69], v[68:69], v[76:77]
	v_mul_f64 v[76:77], v[14:15], s[12:13]
	v_add_f64 v[80:81], v[80:81], v[109:110]
	v_add_f64 v[74:75], v[74:75], v[84:85]
	v_mul_f64 v[84:85], v[10:11], s[14:15]
	v_fma_f64 v[82:83], v[8:9], s[14:15], v[76:77]
	v_fma_f64 v[76:77], v[8:9], s[14:15], -v[76:77]
	v_fma_f64 v[109:110], v[12:13], s[20:21], v[84:85]
	v_fma_f64 v[84:85], v[12:13], s[12:13], v[84:85]
	v_add_f64 v[82:83], v[82:83], v[113:114]
	v_add_f64 v[76:77], v[76:77], v[111:112]
	v_mul_f64 v[111:112], v[14:15], s[52:53]
	v_add_f64 v[109:110], v[109:110], v[117:118]
	v_add_f64 v[84:85], v[84:85], v[115:116]
	v_mul_f64 v[115:116], v[10:11], s[54:55]
	v_fma_f64 v[113:114], v[8:9], s[54:55], v[111:112]
	v_fma_f64 v[111:112], v[8:9], s[54:55], -v[111:112]
	v_fma_f64 v[117:118], v[12:13], s[56:57], v[115:116]
	v_fma_f64 v[115:116], v[12:13], s[52:53], v[115:116]
	v_add_f64 v[113:114], v[113:114], v[121:122]
	v_add_f64 v[111:112], v[111:112], v[119:120]
	v_mul_f64 v[119:120], v[14:15], s[50:51]
	v_mul_f64 v[14:15], v[14:15], s[30:31]
	v_add_f64 v[117:118], v[117:118], v[125:126]
	v_add_f64 v[115:116], v[115:116], v[123:124]
	v_mul_f64 v[123:124], v[10:11], s[48:49]
	v_mul_f64 v[10:11], v[10:11], s[28:29]
	v_fma_f64 v[121:122], v[8:9], s[48:49], v[119:120]
	v_fma_f64 v[119:120], v[8:9], s[48:49], -v[119:120]
	v_fma_f64 v[125:126], v[12:13], s[46:47], v[123:124]
	v_fma_f64 v[123:124], v[12:13], s[50:51], v[123:124]
	v_add_f64 v[121:122], v[121:122], v[129:130]
	v_add_f64 v[119:120], v[119:120], v[127:128]
	v_fma_f64 v[127:128], v[8:9], s[28:29], v[14:15]
	v_fma_f64 v[8:9], v[8:9], s[28:29], -v[14:15]
	v_add_f64 v[14:15], v[56:57], -v[78:79]
	v_fma_f64 v[129:130], v[12:13], s[26:27], v[10:11]
	v_add_f64 v[125:126], v[125:126], v[133:134]
	v_add_f64 v[123:124], v[123:124], v[131:132]
	;; [unrolled: 1-line block ×4, first 2 shown]
	v_fma_f64 v[8:9], v[12:13], s[30:31], v[10:11]
	v_add_f64 v[12:13], v[54:55], -v[26:27]
	v_add_f64 v[10:11], v[56:57], v[78:79]
	v_add_f64 v[129:130], v[129:130], v[137:138]
	;; [unrolled: 1-line block ×4, first 2 shown]
	v_mul_f64 v[26:27], v[14:15], s[40:41]
	v_mul_f64 v[78:79], v[10:11], s[60:61]
	v_fma_f64 v[54:55], v[8:9], s[42:43], v[26:27]
	v_fma_f64 v[26:27], v[8:9], s[42:43], -v[26:27]
	v_add_f64 v[20:21], v[54:55], v[20:21]
	v_mul_f64 v[54:55], v[10:11], s[42:43]
	v_add_f64 v[16:17], v[26:27], v[16:17]
	v_fma_f64 v[26:27], v[12:13], s[40:41], v[54:55]
	v_fma_f64 v[56:57], v[12:13], s[44:45], v[54:55]
	v_add_f64 v[18:19], v[26:27], v[18:19]
	v_mul_f64 v[26:27], v[14:15], s[56:57]
	v_add_f64 v[52:53], v[56:57], v[52:53]
	v_fma_f64 v[54:55], v[8:9], s[54:55], v[26:27]
	v_fma_f64 v[26:27], v[8:9], s[54:55], -v[26:27]
	v_add_f64 v[50:51], v[54:55], v[50:51]
	v_mul_f64 v[54:55], v[10:11], s[54:55]
	v_add_f64 v[22:23], v[26:27], v[22:23]
	v_fma_f64 v[56:57], v[12:13], s[52:53], v[54:55]
	v_fma_f64 v[26:27], v[12:13], s[56:57], v[54:55]
	v_mul_f64 v[54:55], v[14:15], s[30:31]
	v_add_f64 v[56:57], v[56:57], v[62:63]
	v_add_f64 v[26:27], v[26:27], v[58:59]
	v_fma_f64 v[58:59], v[8:9], s[28:29], v[54:55]
	v_mul_f64 v[62:63], v[10:11], s[28:29]
	v_fma_f64 v[54:55], v[8:9], s[28:29], -v[54:55]
	v_add_f64 v[58:59], v[58:59], v[64:65]
	v_fma_f64 v[64:65], v[12:13], s[26:27], v[62:63]
	v_add_f64 v[54:55], v[54:55], v[60:61]
	v_fma_f64 v[60:61], v[12:13], s[30:31], v[62:63]
	v_mul_f64 v[62:63], v[14:15], s[12:13]
	v_add_f64 v[64:65], v[64:65], v[70:71]
	v_mul_f64 v[70:71], v[10:11], s[14:15]
	v_add_f64 v[60:61], v[60:61], v[66:67]
	v_fma_f64 v[66:67], v[8:9], s[14:15], v[62:63]
	v_fma_f64 v[62:63], v[8:9], s[14:15], -v[62:63]
	v_add_f64 v[66:67], v[66:67], v[72:73]
	v_fma_f64 v[72:73], v[12:13], s[20:21], v[70:71]
	v_add_f64 v[62:63], v[62:63], v[68:69]
	v_fma_f64 v[68:69], v[12:13], s[12:13], v[70:71]
	v_mul_f64 v[70:71], v[14:15], s[58:59]
	v_add_f64 v[72:73], v[72:73], v[80:81]
	v_fma_f64 v[80:81], v[12:13], s[62:63], v[78:79]
	v_add_f64 v[68:69], v[68:69], v[74:75]
	v_fma_f64 v[74:75], v[8:9], s[60:61], v[70:71]
	v_fma_f64 v[70:71], v[8:9], s[60:61], -v[70:71]
	v_add_f64 v[80:81], v[80:81], v[109:110]
	v_add_f64 v[74:75], v[74:75], v[82:83]
	;; [unrolled: 1-line block ×3, first 2 shown]
	v_fma_f64 v[76:77], v[12:13], s[58:59], v[78:79]
	v_mul_f64 v[78:79], v[14:15], s[10:11]
	v_add_f64 v[76:77], v[76:77], v[84:85]
	v_fma_f64 v[82:83], v[8:9], s[6:7], v[78:79]
	v_fma_f64 v[78:79], v[8:9], s[6:7], -v[78:79]
	v_mul_f64 v[84:85], v[10:11], s[6:7]
	v_add_f64 v[82:83], v[82:83], v[113:114]
	v_add_f64 v[78:79], v[78:79], v[111:112]
	v_mul_f64 v[111:112], v[14:15], s[34:35]
	v_fma_f64 v[109:110], v[12:13], s[0:1], v[84:85]
	v_fma_f64 v[84:85], v[12:13], s[10:11], v[84:85]
	v_mul_f64 v[14:15], v[14:15], s[46:47]
	v_fma_f64 v[113:114], v[8:9], s[36:37], v[111:112]
	v_fma_f64 v[111:112], v[8:9], s[36:37], -v[111:112]
	v_add_f64 v[84:85], v[84:85], v[115:116]
	v_mul_f64 v[115:116], v[10:11], s[36:37]
	v_mul_f64 v[10:11], v[10:11], s[48:49]
	v_add_f64 v[109:110], v[109:110], v[117:118]
	v_add_f64 v[113:114], v[113:114], v[121:122]
	;; [unrolled: 1-line block ×3, first 2 shown]
	v_fma_f64 v[119:120], v[8:9], s[48:49], v[14:15]
	v_fma_f64 v[8:9], v[8:9], s[48:49], -v[14:15]
	v_add_f64 v[14:15], v[48:49], -v[24:25]
	v_fma_f64 v[121:122], v[12:13], s[50:51], v[10:11]
	v_fma_f64 v[117:118], v[12:13], s[38:39], v[115:116]
	;; [unrolled: 1-line block ×3, first 2 shown]
	v_add_f64 v[119:120], v[119:120], v[127:128]
	v_add_f64 v[0:1], v[8:9], v[0:1]
	v_fma_f64 v[8:9], v[12:13], s[46:47], v[10:11]
	v_add_f64 v[10:11], v[48:49], v[24:25]
	v_mul_f64 v[24:25], v[14:15], s[46:47]
	v_add_f64 v[12:13], v[46:47], -v[30:31]
	v_add_f64 v[115:116], v[115:116], v[123:124]
	v_add_f64 v[117:118], v[117:118], v[125:126]
	;; [unrolled: 1-line block ×5, first 2 shown]
	v_add_f64 v[127:128], v[36:37], -v[44:45]
	v_add_f64 v[36:37], v[38:39], -v[32:33]
	v_add_f64 v[2:3], v[8:9], v[2:3]
	v_add_f64 v[8:9], v[46:47], v[30:31]
	v_mul_f64 v[48:49], v[10:11], s[42:43]
	v_mul_f64 v[32:33], v[125:126], s[14:15]
	;; [unrolled: 1-line block ×3, first 2 shown]
	v_fma_f64 v[30:31], v[8:9], s[48:49], v[24:25]
	v_fma_f64 v[24:25], v[8:9], s[48:49], -v[24:25]
	v_add_f64 v[20:21], v[30:31], v[20:21]
	v_mul_f64 v[30:31], v[10:11], s[48:49]
	v_add_f64 v[16:17], v[24:25], v[16:17]
	v_fma_f64 v[24:25], v[12:13], s[46:47], v[30:31]
	v_fma_f64 v[46:47], v[12:13], s[50:51], v[30:31]
	v_add_f64 v[18:19], v[24:25], v[18:19]
	v_mul_f64 v[24:25], v[14:15], s[44:45]
	v_add_f64 v[46:47], v[46:47], v[52:53]
	v_mul_f64 v[52:53], v[10:11], s[36:37]
	v_fma_f64 v[30:31], v[8:9], s[42:43], v[24:25]
	v_fma_f64 v[24:25], v[8:9], s[42:43], -v[24:25]
	v_add_f64 v[30:31], v[30:31], v[50:51]
	v_add_f64 v[22:23], v[24:25], v[22:23]
	v_fma_f64 v[24:25], v[12:13], s[44:45], v[48:49]
	v_fma_f64 v[50:51], v[12:13], s[40:41], v[48:49]
	v_add_f64 v[24:25], v[24:25], v[26:27]
	v_mul_f64 v[26:27], v[14:15], s[34:35]
	v_add_f64 v[50:51], v[50:51], v[56:57]
	v_fma_f64 v[56:57], v[12:13], s[38:39], v[52:53]
	v_fma_f64 v[52:53], v[12:13], s[34:35], v[52:53]
	v_fma_f64 v[48:49], v[8:9], s[36:37], v[26:27]
	v_fma_f64 v[26:27], v[8:9], s[36:37], -v[26:27]
	v_add_f64 v[56:57], v[56:57], v[64:65]
	v_add_f64 v[52:53], v[52:53], v[60:61]
	v_mul_f64 v[60:61], v[10:11], s[54:55]
	v_add_f64 v[48:49], v[48:49], v[58:59]
	v_add_f64 v[26:27], v[26:27], v[54:55]
	v_mul_f64 v[54:55], v[14:15], s[52:53]
	v_fma_f64 v[64:65], v[12:13], s[56:57], v[60:61]
	v_fma_f64 v[60:61], v[12:13], s[52:53], v[60:61]
	v_fma_f64 v[58:59], v[8:9], s[54:55], v[54:55]
	v_fma_f64 v[54:55], v[8:9], s[54:55], -v[54:55]
	v_add_f64 v[64:65], v[64:65], v[72:73]
	v_add_f64 v[60:61], v[60:61], v[68:69]
	v_mul_f64 v[68:69], v[10:11], s[6:7]
	v_add_f64 v[58:59], v[58:59], v[66:67]
	v_add_f64 v[54:55], v[54:55], v[62:63]
	v_mul_f64 v[62:63], v[14:15], s[10:11]
	;; [unrolled: 10-line block ×3, first 2 shown]
	v_fma_f64 v[80:81], v[12:13], s[30:31], v[76:77]
	v_fma_f64 v[76:77], v[12:13], s[26:27], v[76:77]
	;; [unrolled: 1-line block ×3, first 2 shown]
	v_fma_f64 v[70:71], v[8:9], s[28:29], -v[70:71]
	v_add_f64 v[80:81], v[80:81], v[109:110]
	v_add_f64 v[76:77], v[76:77], v[84:85]
	v_mul_f64 v[84:85], v[10:11], s[60:61]
	v_mul_f64 v[10:11], v[10:11], s[14:15]
	v_add_f64 v[74:75], v[74:75], v[82:83]
	v_add_f64 v[70:71], v[70:71], v[78:79]
	v_mul_f64 v[78:79], v[14:15], s[58:59]
	v_mul_f64 v[14:15], v[14:15], s[20:21]
	v_fma_f64 v[109:110], v[12:13], s[62:63], v[84:85]
	v_fma_f64 v[84:85], v[12:13], s[58:59], v[84:85]
	;; [unrolled: 1-line block ×3, first 2 shown]
	v_fma_f64 v[78:79], v[8:9], s[60:61], -v[78:79]
	v_add_f64 v[109:110], v[109:110], v[117:118]
	v_add_f64 v[84:85], v[84:85], v[115:116]
	;; [unrolled: 1-line block ×4, first 2 shown]
	v_fma_f64 v[111:112], v[8:9], s[14:15], v[14:15]
	v_fma_f64 v[8:9], v[8:9], s[14:15], -v[14:15]
	v_add_f64 v[14:15], v[42:43], -v[28:29]
	v_fma_f64 v[113:114], v[12:13], s[12:13], v[10:11]
	v_add_f64 v[111:112], v[111:112], v[119:120]
	v_add_f64 v[0:1], v[8:9], v[0:1]
	v_fma_f64 v[8:9], v[12:13], s[20:21], v[10:11]
	v_add_f64 v[10:11], v[42:43], v[28:29]
	v_mul_f64 v[28:29], v[14:15], s[52:53]
	v_add_f64 v[12:13], v[40:41], -v[34:35]
	v_add_f64 v[113:114], v[113:114], v[121:122]
	v_add_f64 v[2:3], v[8:9], v[2:3]
	v_add_f64 v[8:9], v[40:41], v[34:35]
	v_fma_f64 v[34:35], v[8:9], s[54:55], v[28:29]
	v_fma_f64 v[28:29], v[8:9], s[54:55], -v[28:29]
	v_add_f64 v[20:21], v[34:35], v[20:21]
	v_mul_f64 v[34:35], v[10:11], s[54:55]
	v_add_f64 v[16:17], v[28:29], v[16:17]
	v_fma_f64 v[28:29], v[12:13], s[52:53], v[34:35]
	v_fma_f64 v[40:41], v[12:13], s[56:57], v[34:35]
	v_add_f64 v[18:19], v[28:29], v[18:19]
	v_mul_f64 v[28:29], v[14:15], s[20:21]
	v_add_f64 v[40:41], v[40:41], v[46:47]
	v_mul_f64 v[46:47], v[10:11], s[6:7]
	v_fma_f64 v[34:35], v[8:9], s[14:15], v[28:29]
	v_fma_f64 v[28:29], v[8:9], s[14:15], -v[28:29]
	v_add_f64 v[30:31], v[34:35], v[30:31]
	v_mul_f64 v[34:35], v[10:11], s[14:15]
	v_add_f64 v[22:23], v[28:29], v[22:23]
	v_fma_f64 v[28:29], v[12:13], s[20:21], v[34:35]
	v_fma_f64 v[42:43], v[12:13], s[12:13], v[34:35]
	v_add_f64 v[24:25], v[28:29], v[24:25]
	v_mul_f64 v[28:29], v[14:15], s[0:1]
	v_add_f64 v[42:43], v[42:43], v[50:51]
	v_fma_f64 v[34:35], v[8:9], s[6:7], v[28:29]
	v_fma_f64 v[28:29], v[8:9], s[6:7], -v[28:29]
	v_add_f64 v[34:35], v[34:35], v[48:49]
	v_fma_f64 v[48:49], v[12:13], s[10:11], v[46:47]
	v_add_f64 v[26:27], v[28:29], v[26:27]
	v_fma_f64 v[28:29], v[12:13], s[0:1], v[46:47]
	v_mul_f64 v[46:47], v[14:15], s[50:51]
	v_add_f64 v[48:49], v[48:49], v[56:57]
	v_add_f64 v[28:29], v[28:29], v[52:53]
	v_fma_f64 v[50:51], v[8:9], s[48:49], v[46:47]
	v_fma_f64 v[46:47], v[8:9], s[48:49], -v[46:47]
	v_mul_f64 v[52:53], v[10:11], s[48:49]
	v_add_f64 v[50:51], v[50:51], v[58:59]
	v_add_f64 v[46:47], v[46:47], v[54:55]
	v_mul_f64 v[54:55], v[14:15], s[34:35]
	v_fma_f64 v[56:57], v[12:13], s[46:47], v[52:53]
	v_fma_f64 v[52:53], v[12:13], s[50:51], v[52:53]
	;; [unrolled: 1-line block ×3, first 2 shown]
	v_fma_f64 v[54:55], v[8:9], s[36:37], -v[54:55]
	v_add_f64 v[52:53], v[52:53], v[60:61]
	v_add_f64 v[56:57], v[56:57], v[64:65]
	;; [unrolled: 1-line block ×3, first 2 shown]
	v_mul_f64 v[58:59], v[10:11], s[36:37]
	v_add_f64 v[117:118], v[54:55], v[62:63]
	v_fma_f64 v[54:55], v[12:13], s[34:35], v[58:59]
	v_fma_f64 v[60:61], v[12:13], s[38:39], v[58:59]
	v_add_f64 v[119:120], v[54:55], v[68:69]
	v_mul_f64 v[54:55], v[14:15], s[58:59]
	v_add_f64 v[72:73], v[60:61], v[72:73]
	v_fma_f64 v[58:59], v[8:9], s[60:61], v[54:55]
	v_fma_f64 v[54:55], v[8:9], s[60:61], -v[54:55]
	v_add_f64 v[74:75], v[58:59], v[74:75]
	v_mul_f64 v[58:59], v[10:11], s[60:61]
	v_add_f64 v[121:122], v[54:55], v[70:71]
	v_fma_f64 v[54:55], v[12:13], s[58:59], v[58:59]
	v_fma_f64 v[60:61], v[12:13], s[62:63], v[58:59]
	v_add_f64 v[76:77], v[54:55], v[76:77]
	v_mul_f64 v[54:55], v[14:15], s[30:31]
	v_mul_f64 v[14:15], v[14:15], s[40:41]
	v_add_f64 v[80:81], v[60:61], v[80:81]
	v_fma_f64 v[58:59], v[8:9], s[28:29], v[54:55]
	v_fma_f64 v[54:55], v[8:9], s[28:29], -v[54:55]
	v_add_f64 v[82:83], v[58:59], v[82:83]
	v_mul_f64 v[58:59], v[10:11], s[28:29]
	v_add_f64 v[78:79], v[54:55], v[78:79]
	v_mul_f64 v[10:11], v[10:11], s[42:43]
	v_fma_f64 v[54:55], v[12:13], s[30:31], v[58:59]
	v_fma_f64 v[60:61], v[12:13], s[26:27], v[58:59]
	v_add_f64 v[84:85], v[54:55], v[84:85]
	v_fma_f64 v[54:55], v[8:9], s[42:43], v[14:15]
	v_fma_f64 v[8:9], v[8:9], s[42:43], -v[14:15]
	v_add_f64 v[109:110], v[60:61], v[109:110]
	v_add_f64 v[111:112], v[54:55], v[111:112]
	v_fma_f64 v[54:55], v[12:13], s[44:45], v[10:11]
	v_add_f64 v[0:1], v[8:9], v[0:1]
	v_fma_f64 v[8:9], v[12:13], s[40:41], v[10:11]
	v_mul_f64 v[10:11], v[36:37], s[58:59]
	v_mul_f64 v[12:13], v[125:126], s[60:61]
	v_add_f64 v[113:114], v[54:55], v[113:114]
	v_add_f64 v[2:3], v[8:9], v[2:3]
	v_fma_f64 v[8:9], v[123:124], s[60:61], v[10:11]
	v_fma_f64 v[14:15], v[127:128], s[62:63], v[12:13]
	v_fma_f64 v[10:11], v[123:124], s[60:61], -v[10:11]
	v_add_f64 v[8:9], v[8:9], v[20:21]
	v_add_f64 v[70:71], v[14:15], v[40:41]
	;; [unrolled: 1-line block ×3, first 2 shown]
	v_fma_f64 v[10:11], v[127:128], s[58:59], v[12:13]
	v_mul_f64 v[14:15], v[36:37], s[38:39]
	v_mul_f64 v[16:17], v[125:126], s[36:37]
	;; [unrolled: 1-line block ×4, first 2 shown]
	v_add_f64 v[64:65], v[10:11], v[18:19]
	v_fma_f64 v[10:11], v[123:124], s[36:37], v[14:15]
	v_fma_f64 v[14:15], v[123:124], s[36:37], -v[14:15]
	v_mul_f64 v[18:19], v[36:37], s[52:53]
	v_fma_f64 v[12:13], v[127:128], s[34:35], v[16:17]
	v_add_f64 v[10:11], v[10:11], v[30:31]
	v_add_f64 v[62:63], v[14:15], v[22:23]
	v_fma_f64 v[14:15], v[127:128], s[38:39], v[16:17]
	v_mul_f64 v[22:23], v[36:37], s[30:31]
	v_fma_f64 v[16:17], v[127:128], s[56:57], v[20:21]
	v_mul_f64 v[30:31], v[36:37], s[20:21]
	v_add_f64 v[12:13], v[12:13], v[42:43]
	v_add_f64 v[68:69], v[14:15], v[24:25]
	v_fma_f64 v[14:15], v[123:124], s[54:55], v[18:19]
	v_fma_f64 v[18:19], v[123:124], s[54:55], -v[18:19]
	v_mul_f64 v[24:25], v[125:126], s[28:29]
	v_add_f64 v[16:17], v[16:17], v[48:49]
	v_add_f64 v[14:15], v[14:15], v[34:35]
	v_add_f64 v[58:59], v[18:19], v[26:27]
	v_fma_f64 v[18:19], v[127:128], s[52:53], v[20:21]
	v_fma_f64 v[20:21], v[127:128], s[26:27], v[24:25]
	v_mul_f64 v[26:27], v[36:37], s[46:47]
	v_mul_f64 v[34:35], v[36:37], s[40:41]
	v_add_f64 v[60:61], v[18:19], v[28:29]
	v_fma_f64 v[18:19], v[123:124], s[28:29], v[22:23]
	v_fma_f64 v[22:23], v[123:124], s[28:29], -v[22:23]
	v_add_f64 v[20:21], v[20:21], v[56:57]
	v_mul_f64 v[28:29], v[125:126], s[48:49]
	v_add_f64 v[18:19], v[18:19], v[50:51]
	v_add_f64 v[54:55], v[22:23], v[46:47]
	v_fma_f64 v[22:23], v[127:128], s[30:31], v[24:25]
	v_fma_f64 v[24:25], v[127:128], s[50:51], v[28:29]
	v_add_f64 v[56:57], v[22:23], v[52:53]
	v_fma_f64 v[22:23], v[123:124], s[48:49], v[26:27]
	v_fma_f64 v[26:27], v[123:124], s[48:49], -v[26:27]
	v_add_f64 v[24:25], v[24:25], v[72:73]
	v_add_f64 v[22:23], v[22:23], v[115:116]
	v_add_f64 v[50:51], v[26:27], v[117:118]
	v_fma_f64 v[26:27], v[127:128], s[46:47], v[28:29]
	v_fma_f64 v[28:29], v[127:128], s[12:13], v[32:33]
	v_add_f64 v[52:53], v[26:27], v[119:120]
	v_fma_f64 v[26:27], v[123:124], s[14:15], v[30:31]
	v_fma_f64 v[30:31], v[123:124], s[14:15], -v[30:31]
	v_add_f64 v[28:29], v[28:29], v[80:81]
	;; [unrolled: 8-line block ×3, first 2 shown]
	v_add_f64 v[30:31], v[30:31], v[82:83]
	v_add_f64 v[42:43], v[34:35], v[78:79]
	v_fma_f64 v[34:35], v[127:128], s[40:41], v[38:39]
	v_mul_f64 v[38:39], v[36:37], s[10:11]
	v_mul_lo_u32 v78, v108, v107
	v_fma_f64 v[36:37], v[127:128], s[0:1], v[40:41]
	s_add_i32 s0, 0, 0x7e70
	v_lshrrev_b32_e32 v72, 2, v78
	v_and_b32_e32 v72, 0x3f0, v72
	v_add_nc_u32_e32 v72, s0, v72
	v_add_f64 v[44:45], v[34:35], v[84:85]
	v_fma_f64 v[34:35], v[123:124], s[6:7], v[38:39]
	v_fma_f64 v[38:39], v[123:124], s[6:7], -v[38:39]
	ds_read_b128 v[72:75], v72 offset:1024
	v_add_f64 v[36:37], v[36:37], v[113:114]
	v_add_f64 v[34:35], v[34:35], v[111:112]
	;; [unrolled: 1-line block ×3, first 2 shown]
	v_fma_f64 v[0:1], v[127:128], s[10:11], v[40:41]
	v_add_f64 v[40:41], v[0:1], v[2:3]
	v_and_b32_e32 v0, 63, v78
	v_lshl_add_u32 v0, v0, 4, 0
	ds_read_b128 v[0:3], v0 offset:32368
	s_waitcnt lgkmcnt(0)
	v_mul_f64 v[76:77], v[2:3], v[74:75]
	v_fma_f64 v[76:77], v[0:1], v[72:73], -v[76:77]
	v_mul_f64 v[0:1], v[0:1], v[74:75]
	v_fma_f64 v[72:73], v[2:3], v[72:73], v[0:1]
	v_lshrrev_b32_e32 v0, 8, v78
	v_and_b32_e32 v0, 0x3f0, v0
	v_add_nc_u32_e32 v0, s0, v0
	ds_read_b128 v[0:3], v0 offset:2048
	s_waitcnt lgkmcnt(0)
	v_mul_f64 v[74:75], v[72:73], v[2:3]
	v_mul_f64 v[2:3], v[76:77], v[2:3]
	v_fma_f64 v[74:75], v[0:1], v[76:77], -v[74:75]
	v_fma_f64 v[2:3], v[0:1], v[72:73], v[2:3]
	v_lshl_add_u32 v72, v107, 4, v107
	v_add_nc_u32_e32 v79, v78, v72
	v_lshrrev_b32_e32 v73, 2, v79
	v_add_nc_u32_e32 v81, v79, v72
	v_and_b32_e32 v73, 0x3f0, v73
	v_add_nc_u32_e32 v73, s0, v73
	v_mul_f64 v[0:1], v[6:7], v[2:3]
	v_mul_f64 v[2:3], v[4:5], v[2:3]
	v_fma_f64 v[0:1], v[4:5], v[74:75], v[0:1]
	v_and_b32_e32 v4, 63, v79
	v_fma_f64 v[2:3], v[6:7], v[74:75], -v[2:3]
	ds_read_b128 v[73:76], v73 offset:1024
	v_lshl_add_u32 v4, v4, 4, 0
	ds_read_b128 v[4:7], v4 offset:32368
	s_waitcnt lgkmcnt(0)
	v_mul_f64 v[77:78], v[6:7], v[75:76]
	v_fma_f64 v[77:78], v[4:5], v[73:74], -v[77:78]
	v_mul_f64 v[4:5], v[4:5], v[75:76]
	v_fma_f64 v[73:74], v[6:7], v[73:74], v[4:5]
	v_lshrrev_b32_e32 v4, 8, v79
	v_and_b32_e32 v4, 0x3f0, v4
	v_add_nc_u32_e32 v4, s0, v4
	ds_read_b128 v[4:7], v4 offset:2048
	s_waitcnt lgkmcnt(0)
	v_mul_f64 v[75:76], v[73:74], v[6:7]
	v_mul_f64 v[6:7], v[77:78], v[6:7]
	v_fma_f64 v[75:76], v[4:5], v[77:78], -v[75:76]
	v_fma_f64 v[6:7], v[4:5], v[73:74], v[6:7]
	v_mul_f64 v[4:5], v[70:71], v[6:7]
	v_mul_f64 v[6:7], v[8:9], v[6:7]
	v_fma_f64 v[4:5], v[8:9], v[75:76], v[4:5]
	v_and_b32_e32 v8, 63, v81
	v_fma_f64 v[6:7], v[70:71], v[75:76], -v[6:7]
	v_lshl_add_u32 v8, v8, 4, 0
	ds_read_b128 v[73:76], v8 offset:32368
	v_lshrrev_b32_e32 v8, 2, v81
	v_and_b32_e32 v8, 0x3f0, v8
	v_add_nc_u32_e32 v8, s0, v8
	ds_read_b128 v[77:80], v8 offset:1024
	s_waitcnt lgkmcnt(0)
	v_mul_f64 v[8:9], v[75:76], v[79:80]
	v_mul_f64 v[70:71], v[73:74], v[79:80]
	v_fma_f64 v[8:9], v[73:74], v[77:78], -v[8:9]
	v_lshrrev_b32_e32 v73, 8, v81
	v_fma_f64 v[70:71], v[75:76], v[77:78], v[70:71]
	v_add_nc_u32_e32 v81, v81, v72
	v_and_b32_e32 v73, 0x3f0, v73
	v_add_nc_u32_e32 v73, s0, v73
	ds_read_b128 v[73:76], v73 offset:2048
	s_waitcnt lgkmcnt(0)
	v_mul_f64 v[77:78], v[70:71], v[75:76]
	v_fma_f64 v[77:78], v[73:74], v[8:9], -v[77:78]
	v_mul_f64 v[8:9], v[8:9], v[75:76]
	v_fma_f64 v[70:71], v[73:74], v[70:71], v[8:9]
	v_mul_f64 v[8:9], v[12:13], v[70:71]
	v_fma_f64 v[8:9], v[10:11], v[77:78], v[8:9]
	v_mul_f64 v[10:11], v[10:11], v[70:71]
	v_fma_f64 v[10:11], v[12:13], v[77:78], -v[10:11]
	v_and_b32_e32 v12, 63, v81
	v_lshl_add_u32 v12, v12, 4, 0
	ds_read_b128 v[73:76], v12 offset:32368
	v_lshrrev_b32_e32 v12, 2, v81
	v_and_b32_e32 v12, 0x3f0, v12
	v_add_nc_u32_e32 v12, s0, v12
	ds_read_b128 v[77:80], v12 offset:1024
	s_waitcnt lgkmcnt(0)
	v_mul_f64 v[12:13], v[75:76], v[79:80]
	v_mul_f64 v[70:71], v[73:74], v[79:80]
	v_fma_f64 v[12:13], v[73:74], v[77:78], -v[12:13]
	v_lshrrev_b32_e32 v73, 8, v81
	v_fma_f64 v[70:71], v[75:76], v[77:78], v[70:71]
	v_add_nc_u32_e32 v81, v81, v72
	v_and_b32_e32 v73, 0x3f0, v73
	v_add_nc_u32_e32 v73, s0, v73
	ds_read_b128 v[73:76], v73 offset:2048
	s_waitcnt lgkmcnt(0)
	v_mul_f64 v[77:78], v[70:71], v[75:76]
	v_fma_f64 v[77:78], v[73:74], v[12:13], -v[77:78]
	v_mul_f64 v[12:13], v[12:13], v[75:76]
	v_fma_f64 v[70:71], v[73:74], v[70:71], v[12:13]
	v_mul_f64 v[12:13], v[16:17], v[70:71]
	v_fma_f64 v[12:13], v[14:15], v[77:78], v[12:13]
	v_mul_f64 v[14:15], v[14:15], v[70:71]
	v_fma_f64 v[14:15], v[16:17], v[77:78], -v[14:15]
	v_and_b32_e32 v16, 63, v81
	;; [unrolled: 26-line block ×12, first 2 shown]
	v_lshl_add_u32 v56, v56, 4, 0
	ds_read_b128 v[73:76], v56 offset:32368
	v_lshrrev_b32_e32 v56, 2, v81
	v_and_b32_e32 v56, 0x3f0, v56
	v_add_nc_u32_e32 v56, s0, v56
	ds_read_b128 v[77:80], v56 offset:1024
	s_waitcnt lgkmcnt(0)
	v_mul_f64 v[56:57], v[75:76], v[79:80]
	v_mul_f64 v[70:71], v[73:74], v[79:80]
	v_fma_f64 v[56:57], v[73:74], v[77:78], -v[56:57]
	v_lshrrev_b32_e32 v73, 8, v81
	v_fma_f64 v[70:71], v[75:76], v[77:78], v[70:71]
	v_add_nc_u32_e32 v81, v81, v72
	v_and_b32_e32 v73, 0x3f0, v73
	v_add_nc_u32_e32 v72, v81, v72
	v_add_nc_u32_e32 v73, s0, v73
	ds_read_b128 v[73:76], v73 offset:2048
	s_waitcnt lgkmcnt(0)
	v_mul_f64 v[77:78], v[70:71], v[75:76]
	v_fma_f64 v[77:78], v[73:74], v[56:57], -v[77:78]
	v_mul_f64 v[56:57], v[56:57], v[75:76]
	v_fma_f64 v[70:71], v[73:74], v[70:71], v[56:57]
	v_mul_f64 v[56:57], v[60:61], v[70:71]
	v_fma_f64 v[56:57], v[58:59], v[77:78], v[56:57]
	v_mul_f64 v[58:59], v[58:59], v[70:71]
	v_fma_f64 v[58:59], v[60:61], v[77:78], -v[58:59]
	v_and_b32_e32 v60, 63, v81
	v_lshl_add_u32 v60, v60, 4, 0
	ds_read_b128 v[73:76], v60 offset:32368
	v_lshrrev_b32_e32 v60, 2, v81
	v_and_b32_e32 v60, 0x3f0, v60
	v_add_nc_u32_e32 v60, s0, v60
	ds_read_b128 v[77:80], v60 offset:1024
	s_waitcnt lgkmcnt(0)
	v_mul_f64 v[60:61], v[75:76], v[79:80]
	v_mul_f64 v[70:71], v[73:74], v[79:80]
	v_fma_f64 v[60:61], v[73:74], v[77:78], -v[60:61]
	v_lshrrev_b32_e32 v73, 8, v81
	v_fma_f64 v[70:71], v[75:76], v[77:78], v[70:71]
	v_and_b32_e32 v73, 0x3f0, v73
	v_add_nc_u32_e32 v73, s0, v73
	ds_read_b128 v[73:76], v73 offset:2048
	s_waitcnt lgkmcnt(0)
	v_mul_f64 v[77:78], v[70:71], v[75:76]
	v_fma_f64 v[77:78], v[73:74], v[60:61], -v[77:78]
	v_mul_f64 v[60:61], v[60:61], v[75:76]
	v_fma_f64 v[70:71], v[73:74], v[70:71], v[60:61]
	v_mul_f64 v[60:61], v[68:69], v[70:71]
	v_fma_f64 v[60:61], v[62:63], v[77:78], v[60:61]
	v_mul_f64 v[62:63], v[62:63], v[70:71]
	v_fma_f64 v[62:63], v[68:69], v[77:78], -v[62:63]
	v_and_b32_e32 v68, 63, v72
	v_lshl_add_u32 v68, v68, 4, 0
	ds_read_b128 v[73:76], v68 offset:32368
	v_lshrrev_b32_e32 v68, 2, v72
	v_lshrrev_b32_e32 v72, 8, v72
	v_and_b32_e32 v68, 0x3f0, v68
	v_and_b32_e32 v72, 0x3f0, v72
	v_add_nc_u32_e32 v68, s0, v68
	v_add_nc_u32_e32 v72, s0, v72
	ds_read_b128 v[77:80], v68 offset:1024
	s_waitcnt lgkmcnt(0)
	v_mul_f64 v[70:71], v[73:74], v[79:80]
	v_mul_f64 v[68:69], v[75:76], v[79:80]
	v_fma_f64 v[70:71], v[75:76], v[77:78], v[70:71]
	v_fma_f64 v[68:69], v[73:74], v[77:78], -v[68:69]
	ds_read_b128 v[72:75], v72 offset:2048
	s_waitcnt lgkmcnt(0)
	s_barrier
	buffer_gl0_inv
	v_mul_f64 v[76:77], v[70:71], v[74:75]
	v_fma_f64 v[76:77], v[72:73], v[68:69], -v[76:77]
	v_mul_f64 v[68:69], v[68:69], v[74:75]
	v_fma_f64 v[70:71], v[72:73], v[70:71], v[68:69]
	v_mul_f64 v[68:69], v[64:65], v[70:71]
	v_fma_f64 v[68:69], v[66:67], v[76:77], v[68:69]
	v_mul_f64 v[66:67], v[66:67], v[70:71]
	v_fma_f64 v[70:71], v[64:65], v[76:77], -v[66:67]
	ds_write_b128 v106, v[0:3]
	ds_write_b128 v106, v[4:7] offset:272
	ds_write_b128 v106, v[8:11] offset:544
	ds_write_b128 v106, v[12:15] offset:816
	ds_write_b128 v106, v[16:19] offset:1088
	ds_write_b128 v106, v[20:23] offset:1360
	ds_write_b128 v106, v[24:27] offset:1632
	ds_write_b128 v106, v[28:31] offset:1904
	ds_write_b128 v106, v[32:35] offset:2176
	ds_write_b128 v106, v[36:39] offset:2448
	ds_write_b128 v106, v[40:43] offset:2720
	ds_write_b128 v106, v[44:47] offset:2992
	ds_write_b128 v106, v[48:51] offset:3264
	ds_write_b128 v106, v[52:55] offset:3536
	ds_write_b128 v106, v[56:59] offset:3808
	ds_write_b128 v106, v[60:63] offset:4080
	ds_write_b128 v106, v[68:71] offset:4352
	s_waitcnt lgkmcnt(0)
	s_barrier
	buffer_gl0_inv
	s_and_saveexec_b32 s0, s9
	s_cbranch_execz .LBB0_19
; %bb.18:
	v_mad_u64_u32 v[0:1], null, s18, v104, 0
	v_mad_u64_u32 v[2:3], null, s16, v101, 0
	;; [unrolled: 1-line block ×3, first 2 shown]
	s_mul_i32 s1, s3, s8
	s_mul_hi_u32 s3, s2, s8
	s_mul_i32 s0, s2, s8
	s_add_i32 s1, s3, s1
	v_mad_u64_u32 v[4:5], null, s19, v104, v[1:2]
	s_lshl_b64 s[0:1], s[0:1], 4
	v_mov_b32_e32 v5, v9
	s_add_u32 s2, s22, s0
	s_addc_u32 s3, s23, s1
	s_lshl_b64 s[0:1], s[4:5], 4
	v_mad_u64_u32 v[10:11], null, s16, v99, 0
	v_mov_b32_e32 v1, v4
	v_mad_u64_u32 v[3:4], null, s17, v101, v[3:4]
	s_add_u32 s0, s2, s0
	v_mad_u64_u32 v[4:5], null, s17, v102, v[5:6]
	v_lshlrev_b64 v[0:1], 4, v[0:1]
	s_addc_u32 s1, s3, s1
	v_add3_u32 v30, 0, v105, v103
	v_lshlrev_b64 v[12:13], 4, v[2:3]
	v_mad_u64_u32 v[14:15], null, s16, v100, 0
	v_add_co_u32 v31, vcc_lo, s0, v0
	v_add_co_ci_u32_e32 v32, vcc_lo, s1, v1, vcc_lo
	v_mov_b32_e32 v9, v4
	v_add_co_u32 v12, vcc_lo, v31, v12
	ds_read_b128 v[0:3], v30
	ds_read_b128 v[4:7], v30 offset:272
	v_add_co_ci_u32_e32 v13, vcc_lo, v32, v13, vcc_lo
	v_mad_u64_u32 v[16:17], null, s17, v99, v[11:12]
	v_lshlrev_b64 v[8:9], 4, v[8:9]
	v_mad_u64_u32 v[20:21], null, s16, v95, 0
	v_mad_u64_u32 v[22:23], null, s16, v96, 0
	;; [unrolled: 1-line block ×4, first 2 shown]
	v_mov_b32_e32 v11, v16
	v_add_co_u32 v8, vcc_lo, v31, v8
	v_add_co_ci_u32_e32 v9, vcc_lo, v32, v9, vcc_lo
	v_mov_b32_e32 v15, v17
	s_waitcnt lgkmcnt(1)
	global_store_dwordx4 v[12:13], v[0:3], off
	v_lshlrev_b64 v[1:2], 4, v[10:11]
	v_mov_b32_e32 v0, v19
	s_waitcnt lgkmcnt(0)
	global_store_dwordx4 v[8:9], v[4:7], off
	v_lshlrev_b64 v[14:15], 4, v[14:15]
	v_mad_u64_u32 v[12:13], null, s16, v97, 0
	v_add_co_u32 v16, vcc_lo, v31, v1
	v_mad_u64_u32 v[8:9], null, s17, v98, v[0:1]
	v_add_co_ci_u32_e32 v17, vcc_lo, v32, v2, vcc_lo
	ds_read_b128 v[0:3], v30 offset:544
	ds_read_b128 v[4:7], v30 offset:816
	v_add_co_u32 v14, vcc_lo, v31, v14
	v_add_co_ci_u32_e32 v15, vcc_lo, v32, v15, vcc_lo
	v_mov_b32_e32 v19, v8
	ds_read_b128 v[8:11], v30 offset:1088
	v_mad_u64_u32 v[24:25], null, s17, v97, v[13:14]
	v_mov_b32_e32 v13, v21
	v_lshlrev_b64 v[18:19], 4, v[18:19]
	v_mov_b32_e32 v21, v23
	s_waitcnt lgkmcnt(2)
	global_store_dwordx4 v[16:17], v[0:3], off
	s_waitcnt lgkmcnt(1)
	global_store_dwordx4 v[14:15], v[4:7], off
	v_mad_u64_u32 v[25:26], null, s17, v95, v[13:14]
	v_mov_b32_e32 v13, v24
	v_add_co_u32 v18, vcc_lo, v31, v18
	v_add_co_ci_u32_e32 v19, vcc_lo, v32, v19, vcc_lo
	v_lshlrev_b64 v[4:5], 4, v[12:13]
	v_mad_u64_u32 v[26:27], null, s17, v96, v[21:22]
	s_waitcnt lgkmcnt(0)
	global_store_dwordx4 v[18:19], v[8:11], off
	ds_read_b128 v[0:3], v30 offset:1360
	v_mov_b32_e32 v21, v25
	v_add_co_u32 v14, vcc_lo, v31, v4
	v_add_co_ci_u32_e32 v15, vcc_lo, v32, v5, vcc_lo
	ds_read_b128 v[4:7], v30 offset:1632
	ds_read_b128 v[8:11], v30 offset:1904
	v_mad_u64_u32 v[12:13], null, s16, v94, 0
	v_mov_b32_e32 v23, v26
	v_lshlrev_b64 v[16:17], 4, v[20:21]
	v_mad_u64_u32 v[20:21], null, s16, v93, 0
	v_lshlrev_b64 v[18:19], 4, v[22:23]
	v_mad_u64_u32 v[22:23], null, s17, v94, v[13:14]
	v_add_co_u32 v16, vcc_lo, v31, v16
	v_add_co_ci_u32_e32 v17, vcc_lo, v32, v17, vcc_lo
	v_mad_u64_u32 v[23:24], null, s16, v92, 0
	v_add_co_u32 v18, vcc_lo, v31, v18
	v_add_co_ci_u32_e32 v19, vcc_lo, v32, v19, vcc_lo
	v_mov_b32_e32 v13, v22
	v_mad_u64_u32 v[21:22], null, s17, v93, v[21:22]
	s_waitcnt lgkmcnt(2)
	global_store_dwordx4 v[14:15], v[0:3], off
	s_waitcnt lgkmcnt(1)
	global_store_dwordx4 v[16:17], v[4:7], off
	;; [unrolled: 2-line block ×3, first 2 shown]
	v_mad_u64_u32 v[16:17], null, s16, v91, 0
	v_mov_b32_e32 v2, v24
	v_lshlrev_b64 v[0:1], 4, v[12:13]
	v_lshlrev_b64 v[10:11], 4, v[20:21]
	v_mad_u64_u32 v[8:9], null, s17, v92, v[2:3]
	v_mov_b32_e32 v9, v17
	v_add_co_u32 v18, vcc_lo, v31, v0
	v_add_co_ci_u32_e32 v19, vcc_lo, v32, v1, vcc_lo
	v_mad_u64_u32 v[20:21], null, s17, v91, v[9:10]
	v_mad_u64_u32 v[21:22], null, s16, v90, 0
	ds_read_b128 v[0:3], v30 offset:2176
	ds_read_b128 v[4:7], v30 offset:2448
	v_add_co_u32 v25, vcc_lo, v31, v10
	v_mov_b32_e32 v24, v8
	v_mov_b32_e32 v17, v20
	v_add_co_ci_u32_e32 v26, vcc_lo, v32, v11, vcc_lo
	v_mov_b32_e32 v20, v22
	ds_read_b128 v[8:11], v30 offset:2720
	ds_read_b128 v[12:15], v30 offset:2992
	v_lshlrev_b64 v[23:24], 4, v[23:24]
	v_lshlrev_b64 v[16:17], 4, v[16:17]
	v_mad_u64_u32 v[27:28], null, s17, v90, v[20:21]
	v_mad_u64_u32 v[28:29], null, s16, v89, 0
	v_add_co_u32 v23, vcc_lo, v31, v23
	v_add_co_ci_u32_e32 v24, vcc_lo, v32, v24, vcc_lo
	v_mov_b32_e32 v22, v27
	s_waitcnt lgkmcnt(3)
	global_store_dwordx4 v[18:19], v[0:3], off
	v_add_co_u32 v16, vcc_lo, v31, v16
	v_mov_b32_e32 v0, v29
	v_lshlrev_b64 v[1:2], 4, v[21:22]
	v_add_co_ci_u32_e32 v17, vcc_lo, v32, v17, vcc_lo
	s_waitcnt lgkmcnt(2)
	global_store_dwordx4 v[25:26], v[4:7], off
	s_waitcnt lgkmcnt(1)
	global_store_dwordx4 v[23:24], v[8:11], off
	;; [unrolled: 2-line block ×3, first 2 shown]
	v_mad_u64_u32 v[8:9], null, s16, v88, 0
	v_mad_u64_u32 v[3:4], null, s17, v89, v[0:1]
	;; [unrolled: 1-line block ×4, first 2 shown]
	v_mov_b32_e32 v0, v9
	v_add_co_u32 v22, vcc_lo, v31, v1
	v_mov_b32_e32 v29, v3
	v_add_co_ci_u32_e32 v23, vcc_lo, v32, v2, vcc_lo
	v_mad_u64_u32 v[9:10], null, s17, v88, v[0:1]
	v_lshlrev_b64 v[11:12], 4, v[28:29]
	v_mov_b32_e32 v10, v21
	v_mov_b32_e32 v13, v25
	ds_read_b128 v[0:3], v30 offset:3264
	ds_read_b128 v[4:7], v30 offset:3536
	v_mad_u64_u32 v[14:15], null, s17, v87, v[10:11]
	v_lshlrev_b64 v[28:29], 4, v[8:9]
	v_mad_u64_u32 v[25:26], null, s17, v86, v[13:14]
	v_add_co_u32 v26, vcc_lo, v31, v11
	v_add_co_ci_u32_e32 v27, vcc_lo, v32, v12, vcc_lo
	v_mov_b32_e32 v21, v14
	ds_read_b128 v[8:11], v30 offset:3808
	ds_read_b128 v[12:15], v30 offset:4080
	;; [unrolled: 1-line block ×3, first 2 shown]
	v_add_co_u32 v28, vcc_lo, v31, v28
	v_lshlrev_b64 v[24:25], 4, v[24:25]
	v_lshlrev_b64 v[20:21], 4, v[20:21]
	v_add_co_ci_u32_e32 v29, vcc_lo, v32, v29, vcc_lo
	v_add_co_u32 v20, vcc_lo, v31, v20
	v_add_co_ci_u32_e32 v21, vcc_lo, v32, v21, vcc_lo
	v_add_co_u32 v24, vcc_lo, v31, v24
	v_add_co_ci_u32_e32 v25, vcc_lo, v32, v25, vcc_lo
	s_waitcnt lgkmcnt(4)
	global_store_dwordx4 v[22:23], v[0:3], off
	s_waitcnt lgkmcnt(3)
	global_store_dwordx4 v[26:27], v[4:7], off
	;; [unrolled: 2-line block ×5, first 2 shown]
.LBB0_19:
	s_endpgm
	.section	.rodata,"a",@progbits
	.p2align	6, 0x0
	.amdhsa_kernel fft_rtc_back_len289_factors_17_17_wgs_119_tpt_17_dp_op_CI_CI_sbcc_twdbase6_3step
		.amdhsa_group_segment_fixed_size 0
		.amdhsa_private_segment_fixed_size 0
		.amdhsa_kernarg_size 112
		.amdhsa_user_sgpr_count 6
		.amdhsa_user_sgpr_private_segment_buffer 1
		.amdhsa_user_sgpr_dispatch_ptr 0
		.amdhsa_user_sgpr_queue_ptr 0
		.amdhsa_user_sgpr_kernarg_segment_ptr 1
		.amdhsa_user_sgpr_dispatch_id 0
		.amdhsa_user_sgpr_flat_scratch_init 0
		.amdhsa_user_sgpr_private_segment_size 0
		.amdhsa_wavefront_size32 1
		.amdhsa_uses_dynamic_stack 0
		.amdhsa_system_sgpr_private_segment_wavefront_offset 0
		.amdhsa_system_sgpr_workgroup_id_x 1
		.amdhsa_system_sgpr_workgroup_id_y 0
		.amdhsa_system_sgpr_workgroup_id_z 0
		.amdhsa_system_sgpr_workgroup_info 0
		.amdhsa_system_vgpr_workitem_id 0
		.amdhsa_next_free_vgpr 159
		.amdhsa_next_free_sgpr 64
		.amdhsa_reserve_vcc 1
		.amdhsa_reserve_flat_scratch 0
		.amdhsa_float_round_mode_32 0
		.amdhsa_float_round_mode_16_64 0
		.amdhsa_float_denorm_mode_32 3
		.amdhsa_float_denorm_mode_16_64 3
		.amdhsa_dx10_clamp 1
		.amdhsa_ieee_mode 1
		.amdhsa_fp16_overflow 0
		.amdhsa_workgroup_processor_mode 1
		.amdhsa_memory_ordered 1
		.amdhsa_forward_progress 0
		.amdhsa_shared_vgpr_count 0
		.amdhsa_exception_fp_ieee_invalid_op 0
		.amdhsa_exception_fp_denorm_src 0
		.amdhsa_exception_fp_ieee_div_zero 0
		.amdhsa_exception_fp_ieee_overflow 0
		.amdhsa_exception_fp_ieee_underflow 0
		.amdhsa_exception_fp_ieee_inexact 0
		.amdhsa_exception_int_div_zero 0
	.end_amdhsa_kernel
	.text
.Lfunc_end0:
	.size	fft_rtc_back_len289_factors_17_17_wgs_119_tpt_17_dp_op_CI_CI_sbcc_twdbase6_3step, .Lfunc_end0-fft_rtc_back_len289_factors_17_17_wgs_119_tpt_17_dp_op_CI_CI_sbcc_twdbase6_3step
                                        ; -- End function
	.section	.AMDGPU.csdata,"",@progbits
; Kernel info:
; codeLenInByte = 20664
; NumSgprs: 66
; NumVgprs: 159
; ScratchSize: 0
; MemoryBound: 0
; FloatMode: 240
; IeeeMode: 1
; LDSByteSize: 0 bytes/workgroup (compile time only)
; SGPRBlocks: 8
; VGPRBlocks: 19
; NumSGPRsForWavesPerEU: 66
; NumVGPRsForWavesPerEU: 159
; Occupancy: 6
; WaveLimiterHint : 1
; COMPUTE_PGM_RSRC2:SCRATCH_EN: 0
; COMPUTE_PGM_RSRC2:USER_SGPR: 6
; COMPUTE_PGM_RSRC2:TRAP_HANDLER: 0
; COMPUTE_PGM_RSRC2:TGID_X_EN: 1
; COMPUTE_PGM_RSRC2:TGID_Y_EN: 0
; COMPUTE_PGM_RSRC2:TGID_Z_EN: 0
; COMPUTE_PGM_RSRC2:TIDIG_COMP_CNT: 0
	.text
	.p2alignl 6, 3214868480
	.fill 48, 4, 3214868480
	.type	__hip_cuid_35ceda6b8b81bb3e,@object ; @__hip_cuid_35ceda6b8b81bb3e
	.section	.bss,"aw",@nobits
	.globl	__hip_cuid_35ceda6b8b81bb3e
__hip_cuid_35ceda6b8b81bb3e:
	.byte	0                               ; 0x0
	.size	__hip_cuid_35ceda6b8b81bb3e, 1

	.ident	"AMD clang version 19.0.0git (https://github.com/RadeonOpenCompute/llvm-project roc-6.4.0 25133 c7fe45cf4b819c5991fe208aaa96edf142730f1d)"
	.section	".note.GNU-stack","",@progbits
	.addrsig
	.addrsig_sym __hip_cuid_35ceda6b8b81bb3e
	.amdgpu_metadata
---
amdhsa.kernels:
  - .args:
      - .actual_access:  read_only
        .address_space:  global
        .offset:         0
        .size:           8
        .value_kind:     global_buffer
      - .address_space:  global
        .offset:         8
        .size:           8
        .value_kind:     global_buffer
      - .offset:         16
        .size:           8
        .value_kind:     by_value
      - .actual_access:  read_only
        .address_space:  global
        .offset:         24
        .size:           8
        .value_kind:     global_buffer
      - .actual_access:  read_only
        .address_space:  global
        .offset:         32
        .size:           8
        .value_kind:     global_buffer
      - .actual_access:  read_only
        .address_space:  global
        .offset:         40
        .size:           8
        .value_kind:     global_buffer
      - .offset:         48
        .size:           8
        .value_kind:     by_value
      - .actual_access:  read_only
        .address_space:  global
        .offset:         56
        .size:           8
        .value_kind:     global_buffer
      - .actual_access:  read_only
        .address_space:  global
        .offset:         64
        .size:           8
        .value_kind:     global_buffer
      - .offset:         72
        .size:           4
        .value_kind:     by_value
      - .actual_access:  read_only
        .address_space:  global
        .offset:         80
        .size:           8
        .value_kind:     global_buffer
      - .actual_access:  read_only
        .address_space:  global
        .offset:         88
        .size:           8
        .value_kind:     global_buffer
      - .actual_access:  read_only
        .address_space:  global
        .offset:         96
        .size:           8
        .value_kind:     global_buffer
      - .actual_access:  write_only
        .address_space:  global
        .offset:         104
        .size:           8
        .value_kind:     global_buffer
    .group_segment_fixed_size: 0
    .kernarg_segment_align: 8
    .kernarg_segment_size: 112
    .language:       OpenCL C
    .language_version:
      - 2
      - 0
    .max_flat_workgroup_size: 119
    .name:           fft_rtc_back_len289_factors_17_17_wgs_119_tpt_17_dp_op_CI_CI_sbcc_twdbase6_3step
    .private_segment_fixed_size: 0
    .sgpr_count:     66
    .sgpr_spill_count: 0
    .symbol:         fft_rtc_back_len289_factors_17_17_wgs_119_tpt_17_dp_op_CI_CI_sbcc_twdbase6_3step.kd
    .uniform_work_group_size: 1
    .uses_dynamic_stack: false
    .vgpr_count:     159
    .vgpr_spill_count: 0
    .wavefront_size: 32
    .workgroup_processor_mode: 1
amdhsa.target:   amdgcn-amd-amdhsa--gfx1030
amdhsa.version:
  - 1
  - 2
...

	.end_amdgpu_metadata
